;; amdgpu-corpus repo=ROCm/rocFFT kind=compiled arch=gfx1030 opt=O3
	.text
	.amdgcn_target "amdgcn-amd-amdhsa--gfx1030"
	.amdhsa_code_object_version 6
	.protected	fft_rtc_fwd_len1960_factors_4_7_2_7_5_wgs_56_tpt_56_halfLds_sp_op_CI_CI_unitstride_sbrr_dirReg ; -- Begin function fft_rtc_fwd_len1960_factors_4_7_2_7_5_wgs_56_tpt_56_halfLds_sp_op_CI_CI_unitstride_sbrr_dirReg
	.globl	fft_rtc_fwd_len1960_factors_4_7_2_7_5_wgs_56_tpt_56_halfLds_sp_op_CI_CI_unitstride_sbrr_dirReg
	.p2align	8
	.type	fft_rtc_fwd_len1960_factors_4_7_2_7_5_wgs_56_tpt_56_halfLds_sp_op_CI_CI_unitstride_sbrr_dirReg,@function
fft_rtc_fwd_len1960_factors_4_7_2_7_5_wgs_56_tpt_56_halfLds_sp_op_CI_CI_unitstride_sbrr_dirReg: ; @fft_rtc_fwd_len1960_factors_4_7_2_7_5_wgs_56_tpt_56_halfLds_sp_op_CI_CI_unitstride_sbrr_dirReg
; %bb.0:
	s_clause 0x2
	s_load_dwordx4 s[12:15], s[4:5], 0x0
	s_load_dwordx4 s[8:11], s[4:5], 0x58
	;; [unrolled: 1-line block ×3, first 2 shown]
	v_mul_u32_u24_e32 v2, 0x493, v0
	v_mov_b32_e32 v1, 0
	v_mov_b32_e32 v62, 0
	;; [unrolled: 1-line block ×3, first 2 shown]
	v_add_nc_u32_sdwa v3, s6, v2 dst_sel:DWORD dst_unused:UNUSED_PAD src0_sel:DWORD src1_sel:WORD_1
	v_mov_b32_e32 v4, v1
	s_waitcnt lgkmcnt(0)
	v_cmp_lt_u64_e64 s0, s[14:15], 2
	s_and_b32 vcc_lo, exec_lo, s0
	s_cbranch_vccnz .LBB0_8
; %bb.1:
	s_load_dwordx2 s[0:1], s[4:5], 0x10
	v_mov_b32_e32 v62, 0
	v_mov_b32_e32 v63, 0
	s_add_u32 s2, s18, 8
	s_addc_u32 s3, s19, 0
	v_mov_b32_e32 v28, v62
	s_add_u32 s6, s16, 8
	v_mov_b32_e32 v29, v63
	s_addc_u32 s7, s17, 0
	s_mov_b64 s[22:23], 1
	s_waitcnt lgkmcnt(0)
	s_add_u32 s20, s0, 8
	s_addc_u32 s21, s1, 0
.LBB0_2:                                ; =>This Inner Loop Header: Depth=1
	s_load_dwordx2 s[24:25], s[20:21], 0x0
                                        ; implicit-def: $vgpr30_vgpr31
	s_mov_b32 s0, exec_lo
	s_waitcnt lgkmcnt(0)
	v_or_b32_e32 v2, s25, v4
	v_cmpx_ne_u64_e32 0, v[1:2]
	s_xor_b32 s1, exec_lo, s0
	s_cbranch_execz .LBB0_4
; %bb.3:                                ;   in Loop: Header=BB0_2 Depth=1
	v_cvt_f32_u32_e32 v2, s24
	v_cvt_f32_u32_e32 v5, s25
	s_sub_u32 s0, 0, s24
	s_subb_u32 s26, 0, s25
	v_fmac_f32_e32 v2, 0x4f800000, v5
	v_rcp_f32_e32 v2, v2
	v_mul_f32_e32 v2, 0x5f7ffffc, v2
	v_mul_f32_e32 v5, 0x2f800000, v2
	v_trunc_f32_e32 v5, v5
	v_fmac_f32_e32 v2, 0xcf800000, v5
	v_cvt_u32_f32_e32 v5, v5
	v_cvt_u32_f32_e32 v2, v2
	v_mul_lo_u32 v6, s0, v5
	v_mul_hi_u32 v7, s0, v2
	v_mul_lo_u32 v8, s26, v2
	v_add_nc_u32_e32 v6, v7, v6
	v_mul_lo_u32 v7, s0, v2
	v_add_nc_u32_e32 v6, v6, v8
	v_mul_hi_u32 v8, v2, v7
	v_mul_lo_u32 v9, v2, v6
	v_mul_hi_u32 v10, v2, v6
	v_mul_hi_u32 v11, v5, v7
	v_mul_lo_u32 v7, v5, v7
	v_mul_hi_u32 v12, v5, v6
	v_mul_lo_u32 v6, v5, v6
	v_add_co_u32 v8, vcc_lo, v8, v9
	v_add_co_ci_u32_e32 v9, vcc_lo, 0, v10, vcc_lo
	v_add_co_u32 v7, vcc_lo, v8, v7
	v_add_co_ci_u32_e32 v7, vcc_lo, v9, v11, vcc_lo
	v_add_co_ci_u32_e32 v8, vcc_lo, 0, v12, vcc_lo
	v_add_co_u32 v6, vcc_lo, v7, v6
	v_add_co_ci_u32_e32 v7, vcc_lo, 0, v8, vcc_lo
	v_add_co_u32 v2, vcc_lo, v2, v6
	v_add_co_ci_u32_e32 v5, vcc_lo, v5, v7, vcc_lo
	v_mul_hi_u32 v6, s0, v2
	v_mul_lo_u32 v8, s26, v2
	v_mul_lo_u32 v7, s0, v5
	v_add_nc_u32_e32 v6, v6, v7
	v_mul_lo_u32 v7, s0, v2
	v_add_nc_u32_e32 v6, v6, v8
	v_mul_hi_u32 v8, v2, v7
	v_mul_lo_u32 v9, v2, v6
	v_mul_hi_u32 v10, v2, v6
	v_mul_hi_u32 v11, v5, v7
	v_mul_lo_u32 v7, v5, v7
	v_mul_hi_u32 v12, v5, v6
	v_mul_lo_u32 v6, v5, v6
	v_add_co_u32 v8, vcc_lo, v8, v9
	v_add_co_ci_u32_e32 v9, vcc_lo, 0, v10, vcc_lo
	v_add_co_u32 v7, vcc_lo, v8, v7
	v_add_co_ci_u32_e32 v7, vcc_lo, v9, v11, vcc_lo
	v_add_co_ci_u32_e32 v8, vcc_lo, 0, v12, vcc_lo
	v_add_co_u32 v6, vcc_lo, v7, v6
	v_add_co_ci_u32_e32 v7, vcc_lo, 0, v8, vcc_lo
	v_add_co_u32 v2, vcc_lo, v2, v6
	v_add_co_ci_u32_e32 v9, vcc_lo, v5, v7, vcc_lo
	v_mul_hi_u32 v11, v3, v2
	v_mad_u64_u32 v[7:8], null, v4, v2, 0
	v_mad_u64_u32 v[5:6], null, v3, v9, 0
	;; [unrolled: 1-line block ×3, first 2 shown]
	v_add_co_u32 v2, vcc_lo, v11, v5
	v_add_co_ci_u32_e32 v5, vcc_lo, 0, v6, vcc_lo
	v_add_co_u32 v2, vcc_lo, v2, v7
	v_add_co_ci_u32_e32 v2, vcc_lo, v5, v8, vcc_lo
	v_add_co_ci_u32_e32 v5, vcc_lo, 0, v10, vcc_lo
	v_add_co_u32 v2, vcc_lo, v2, v9
	v_add_co_ci_u32_e32 v7, vcc_lo, 0, v5, vcc_lo
	v_mul_lo_u32 v8, s25, v2
	v_mad_u64_u32 v[5:6], null, s24, v2, 0
	v_mul_lo_u32 v9, s24, v7
	v_sub_co_u32 v5, vcc_lo, v3, v5
	v_add3_u32 v6, v6, v9, v8
	v_sub_nc_u32_e32 v8, v4, v6
	v_subrev_co_ci_u32_e64 v8, s0, s25, v8, vcc_lo
	v_add_co_u32 v9, s0, v2, 2
	v_add_co_ci_u32_e64 v10, s0, 0, v7, s0
	v_sub_co_u32 v11, s0, v5, s24
	v_sub_co_ci_u32_e32 v6, vcc_lo, v4, v6, vcc_lo
	v_subrev_co_ci_u32_e64 v8, s0, 0, v8, s0
	v_cmp_le_u32_e32 vcc_lo, s24, v11
	v_cmp_eq_u32_e64 s0, s25, v6
	v_cndmask_b32_e64 v11, 0, -1, vcc_lo
	v_cmp_le_u32_e32 vcc_lo, s25, v8
	v_cndmask_b32_e64 v12, 0, -1, vcc_lo
	v_cmp_le_u32_e32 vcc_lo, s24, v5
	;; [unrolled: 2-line block ×3, first 2 shown]
	v_cndmask_b32_e64 v13, 0, -1, vcc_lo
	v_cmp_eq_u32_e32 vcc_lo, s25, v8
	v_cndmask_b32_e64 v5, v13, v5, s0
	v_cndmask_b32_e32 v8, v12, v11, vcc_lo
	v_add_co_u32 v11, vcc_lo, v2, 1
	v_add_co_ci_u32_e32 v12, vcc_lo, 0, v7, vcc_lo
	v_cmp_ne_u32_e32 vcc_lo, 0, v8
	v_cndmask_b32_e32 v6, v12, v10, vcc_lo
	v_cndmask_b32_e32 v8, v11, v9, vcc_lo
	v_cmp_ne_u32_e32 vcc_lo, 0, v5
	v_cndmask_b32_e32 v31, v7, v6, vcc_lo
	v_cndmask_b32_e32 v30, v2, v8, vcc_lo
.LBB0_4:                                ;   in Loop: Header=BB0_2 Depth=1
	s_andn2_saveexec_b32 s0, s1
	s_cbranch_execz .LBB0_6
; %bb.5:                                ;   in Loop: Header=BB0_2 Depth=1
	v_cvt_f32_u32_e32 v2, s24
	s_sub_i32 s1, 0, s24
	v_mov_b32_e32 v31, v1
	v_rcp_iflag_f32_e32 v2, v2
	v_mul_f32_e32 v2, 0x4f7ffffe, v2
	v_cvt_u32_f32_e32 v2, v2
	v_mul_lo_u32 v5, s1, v2
	v_mul_hi_u32 v5, v2, v5
	v_add_nc_u32_e32 v2, v2, v5
	v_mul_hi_u32 v2, v3, v2
	v_mul_lo_u32 v5, v2, s24
	v_add_nc_u32_e32 v6, 1, v2
	v_sub_nc_u32_e32 v5, v3, v5
	v_subrev_nc_u32_e32 v7, s24, v5
	v_cmp_le_u32_e32 vcc_lo, s24, v5
	v_cndmask_b32_e32 v5, v5, v7, vcc_lo
	v_cndmask_b32_e32 v2, v2, v6, vcc_lo
	v_cmp_le_u32_e32 vcc_lo, s24, v5
	v_add_nc_u32_e32 v6, 1, v2
	v_cndmask_b32_e32 v30, v2, v6, vcc_lo
.LBB0_6:                                ;   in Loop: Header=BB0_2 Depth=1
	s_or_b32 exec_lo, exec_lo, s0
	v_mul_lo_u32 v2, v31, s24
	v_mul_lo_u32 v7, v30, s25
	s_load_dwordx2 s[0:1], s[6:7], 0x0
	v_mad_u64_u32 v[5:6], null, v30, s24, 0
	s_load_dwordx2 s[24:25], s[2:3], 0x0
	s_add_u32 s22, s22, 1
	s_addc_u32 s23, s23, 0
	s_add_u32 s2, s2, 8
	s_addc_u32 s3, s3, 0
	s_add_u32 s6, s6, 8
	v_add3_u32 v2, v6, v7, v2
	v_sub_co_u32 v3, vcc_lo, v3, v5
	s_addc_u32 s7, s7, 0
	s_add_u32 s20, s20, 8
	v_sub_co_ci_u32_e32 v2, vcc_lo, v4, v2, vcc_lo
	s_addc_u32 s21, s21, 0
	s_waitcnt lgkmcnt(0)
	v_mul_lo_u32 v4, s0, v2
	v_mul_lo_u32 v5, s1, v3
	v_mad_u64_u32 v[62:63], null, s0, v3, v[62:63]
	v_mul_lo_u32 v2, s24, v2
	v_mul_lo_u32 v6, s25, v3
	v_mad_u64_u32 v[28:29], null, s24, v3, v[28:29]
	v_cmp_ge_u64_e64 s0, s[22:23], s[14:15]
	v_add3_u32 v63, v5, v63, v4
	v_add3_u32 v29, v6, v29, v2
	s_and_b32 vcc_lo, exec_lo, s0
	s_cbranch_vccnz .LBB0_9
; %bb.7:                                ;   in Loop: Header=BB0_2 Depth=1
	v_mov_b32_e32 v3, v30
	v_mov_b32_e32 v4, v31
	s_branch .LBB0_2
.LBB0_8:
	v_mov_b32_e32 v28, v62
	v_mov_b32_e32 v31, v4
	;; [unrolled: 1-line block ×4, first 2 shown]
.LBB0_9:
	s_load_dwordx2 s[0:1], s[4:5], 0x28
	v_mul_hi_u32 v3, 0x4924925, v0
	s_lshl_b64 s[4:5], s[14:15], 3
                                        ; implicit-def: $sgpr6
                                        ; implicit-def: $vgpr108
                                        ; implicit-def: $vgpr12
	s_add_u32 s2, s18, s4
	s_addc_u32 s3, s19, s5
	s_waitcnt lgkmcnt(0)
	v_cmp_gt_u64_e32 vcc_lo, s[0:1], v[30:31]
	v_cmp_le_u64_e64 s0, s[0:1], v[30:31]
	s_and_saveexec_b32 s1, s0
	s_xor_b32 s0, exec_lo, s1
; %bb.10:
	v_mul_u32_u24_e32 v1, 56, v3
	s_mov_b32 s6, 0
                                        ; implicit-def: $vgpr3
                                        ; implicit-def: $vgpr62_vgpr63
	v_sub_nc_u32_e32 v108, v0, v1
                                        ; implicit-def: $vgpr0
	v_or_b32_e32 v12, 0x1c0, v108
; %bb.11:
	s_or_saveexec_b32 s1, s0
	s_load_dwordx2 s[2:3], s[2:3], 0x0
	v_mov_b32_e32 v2, s6
	v_mov_b32_e32 v1, s6
	;; [unrolled: 1-line block ×4, first 2 shown]
                                        ; implicit-def: $vgpr23
                                        ; implicit-def: $vgpr59
                                        ; implicit-def: $vgpr61
                                        ; implicit-def: $vgpr27
                                        ; implicit-def: $vgpr57
                                        ; implicit-def: $vgpr47
                                        ; implicit-def: $vgpr78
                                        ; implicit-def: $vgpr8
                                        ; implicit-def: $vgpr55
                                        ; implicit-def: $vgpr39
                                        ; implicit-def: $vgpr76
                                        ; implicit-def: $vgpr10
                                        ; implicit-def: $vgpr15
                                        ; implicit-def: $vgpr35
                                        ; implicit-def: $vgpr72
                                        ; implicit-def: $vgpr45
                                        ; implicit-def: $vgpr17
                                        ; implicit-def: $vgpr33
                                        ; implicit-def: $vgpr37
                                        ; implicit-def: $vgpr53
                                        ; implicit-def: $vgpr25
                                        ; implicit-def: $vgpr70
                                        ; implicit-def: $vgpr19
                                        ; implicit-def: $vgpr41
                                        ; implicit-def: $vgpr49
                                        ; implicit-def: $vgpr21
                                        ; implicit-def: $vgpr43
                                        ; implicit-def: $vgpr51
                                        ; implicit-def: $vgpr6
                                        ; implicit-def: $vgpr66
                                        ; implicit-def: $vgpr64
                                        ; implicit-def: $vgpr68
                                        ; implicit-def: $vgpr74
                                        ; implicit-def: $vgpr80
	s_xor_b32 exec_lo, exec_lo, s1
	s_cbranch_execz .LBB0_15
; %bb.12:
	s_add_u32 s4, s16, s4
	s_addc_u32 s5, s17, s5
	v_mov_b32_e32 v13, 0
	s_load_dwordx2 s[4:5], s[4:5], 0x0
                                        ; implicit-def: $vgpr65
	s_waitcnt lgkmcnt(0)
	v_mul_lo_u32 v4, s5, v30
	v_mul_lo_u32 v5, s4, v31
	v_mad_u64_u32 v[1:2], null, s4, v30, 0
	s_mov_b32 s4, exec_lo
	v_add3_u32 v2, v2, v5, v4
	v_mul_u32_u24_e32 v5, 56, v3
	v_lshlrev_b64 v[3:4], 3, v[62:63]
	v_lshlrev_b64 v[1:2], 3, v[1:2]
	v_sub_nc_u32_e32 v108, v0, v5
	v_add_co_u32 v0, s0, s8, v1
	v_add_co_ci_u32_e64 v1, s0, s9, v2, s0
	v_lshlrev_b32_e32 v2, 3, v108
	v_add_co_u32 v0, s0, v0, v3
	v_add_co_ci_u32_e64 v3, s0, v1, v4, s0
	v_add_co_u32 v1, s0, v0, v2
	v_add_co_ci_u32_e64 v2, s0, 0, v3, s0
	;; [unrolled: 2-line block ×8, first 2 shown]
	v_add_co_u32 v85, s0, 0x3800, v1
	s_clause 0xc
	global_load_dwordx2 v[22:23], v[1:2], off
	global_load_dwordx2 v[26:27], v[1:2], off offset:448
	global_load_dwordx2 v[7:8], v[1:2], off offset:896
	;; [unrolled: 1-line block ×12, first 2 shown]
	v_add_co_ci_u32_e64 v86, s0, 0, v2, s0
	s_clause 0x12
	global_load_dwordx2 v[44:45], v[1:2], off offset:1792
	global_load_dwordx2 v[36:37], v[4:5], off offset:192
	;; [unrolled: 1-line block ×19, first 2 shown]
	v_or_b32_e32 v12, 0x1c0, v108
	v_mov_b32_e32 v1, 0
	v_mov_b32_e32 v2, 0
	;; [unrolled: 1-line block ×3, first 2 shown]
                                        ; implicit-def: $vgpr5
	v_cmpx_gt_u32_e32 0x1ea, v12
	s_cbranch_execz .LBB0_14
; %bb.13:
	v_lshlrev_b64 v[1:2], 3, v[12:13]
	v_add_co_u32 v0, s0, v0, v1
	v_add_co_ci_u32_e64 v1, s0, v3, v2, s0
	s_clause 0x3
	global_load_dwordx2 v[3:4], v[81:82], off offset:1360
	global_load_dwordx2 v[5:6], v[83:84], off offset:1184
	global_load_dwordx2 v[1:2], v[0:1], off
	global_load_dwordx2 v[65:66], v[85:86], off offset:1008
	s_waitcnt vmcnt(3)
	v_mov_b32_e32 v13, v3
.LBB0_14:
	s_or_b32 exec_lo, exec_lo, s4
.LBB0_15:
	s_or_b32 exec_lo, exec_lo, s1
	s_waitcnt vmcnt(11)
	v_sub_f32_e32 v0, v22, v60
	s_waitcnt vmcnt(5)
	v_sub_f32_e32 v60, v58, v79
	v_sub_f32_e32 v3, v26, v46
	;; [unrolled: 1-line block ×4, first 2 shown]
	v_fma_f32 v11, v22, 2.0, -v0
	v_fma_f32 v22, v58, 2.0, -v60
	v_sub_f32_e32 v58, v59, v80
	v_fma_f32 v26, v26, 2.0, -v3
	v_fma_f32 v62, v56, 2.0, -v46
	v_sub_f32_e32 v56, v57, v78
	v_sub_f32_e32 v77, v11, v22
	;; [unrolled: 1-line block ×6, first 2 shown]
	v_fma_f32 v81, v11, 2.0, -v77
	v_fma_f32 v82, v0, 2.0, -v78
	;; [unrolled: 1-line block ×5, first 2 shown]
	v_sub_f32_e32 v11, v9, v34
	v_sub_f32_e32 v26, v14, v71
	;; [unrolled: 1-line block ×3, first 2 shown]
	v_fma_f32 v84, v3, 2.0, -v80
	v_sub_f32_e32 v75, v7, v0
	v_lshl_add_u32 v0, v108, 4, 0
	v_fma_f32 v3, v14, 2.0, -v26
	v_sub_f32_e32 v72, v11, v38
	v_sub_f32_e32 v14, v44, v32
	s_waitcnt vmcnt(3)
	v_sub_f32_e32 v32, v16, v73
	v_fma_f32 v9, v9, 2.0, -v11
	ds_write2_b64 v0, v[81:82], v[77:78] offset1:1
	v_fma_f32 v82, v11, 2.0, -v72
	v_fma_f32 v11, v44, 2.0, -v14
	;; [unrolled: 1-line block ×3, first 2 shown]
	v_sub_f32_e32 v34, v55, v76
	v_sub_f32_e32 v71, v9, v3
	v_add_nc_u32_e32 v112, 0xa8, v108
	v_sub_f32_e32 v44, v17, v74
	v_sub_f32_e32 v73, v11, v16
	;; [unrolled: 1-line block ×3, first 2 shown]
	s_waitcnt vmcnt(2)
	v_sub_f32_e32 v24, v52, v69
	v_sub_f32_e32 v76, v85, v34
	v_add_nc_u32_e32 v111, 0x70, v108
	v_fma_f32 v81, v9, 2.0, -v71
	v_lshl_add_u32 v9, v112, 4, 0
	v_sub_f32_e32 v74, v14, v44
	v_fma_f32 v54, v36, 2.0, -v16
	v_fma_f32 v36, v52, 2.0, -v24
	v_sub_f32_e32 v52, v53, v70
	v_fma_f32 v77, v7, 2.0, -v75
	v_fma_f32 v78, v85, 2.0, -v76
	v_lshl_add_u32 v7, v111, 4, 0
	ds_write2_b64 v9, v[81:82], v[71:72] offset1:1
	v_fma_f32 v70, v14, 2.0, -v74
	v_sub_f32_e32 v71, v54, v36
	v_sub_f32_e32 v72, v16, v52
	;; [unrolled: 1-line block ×3, first 2 shown]
	s_waitcnt vmcnt(1)
	v_sub_f32_e32 v36, v40, v67
	v_add_nc_u32_e32 v110, 56, v108
	ds_write2_b64 v7, v[77:78], v[75:76] offset1:1
	v_fma_f32 v75, v54, 2.0, -v71
	v_fma_f32 v76, v16, 2.0, -v72
	v_fma_f32 v48, v18, 2.0, -v14
	v_fma_f32 v54, v40, 2.0, -v36
	v_sub_f32_e32 v50, v20, v50
	s_waitcnt vmcnt(0)
	v_sub_f32_e32 v16, v42, v63
	v_lshl_add_u32 v3, v110, 4, 0
	v_sub_f32_e32 v40, v41, v68
	v_sub_f32_e32 v67, v48, v54
	v_fma_f32 v20, v20, 2.0, -v50
	v_fma_f32 v54, v42, 2.0, -v16
	ds_write2_b64 v3, v[83:84], v[79:80] offset1:1
	v_sub_f32_e32 v42, v43, v64
	v_add_nc_u32_e32 v113, 0xe0, v108
	v_add_nc_u32_e32 v114, 0x118, v108
	v_sub_f32_e32 v79, v20, v54
	v_sub_f32_e32 v68, v14, v40
	v_add_nc_u32_e32 v115, 0x150, v108
	v_fma_f32 v77, v48, 2.0, -v67
	v_add_nc_u32_e32 v90, 0x188, v108
	v_fma_f32 v81, v20, 2.0, -v79
	v_sub_f32_e32 v48, v1, v5
	v_sub_f32_e32 v20, v4, v66
	;; [unrolled: 1-line block ×3, first 2 shown]
	v_fma_f32 v69, v11, 2.0, -v73
	v_lshl_add_u32 v11, v113, 4, 0
	v_lshl_add_u32 v18, v114, 4, 0
	v_fma_f32 v78, v14, 2.0, -v68
	v_lshl_add_u32 v62, v115, 4, 0
	v_lshl_add_u32 v63, v90, 4, 0
	v_sub_f32_e32 v64, v13, v65
	v_cmp_gt_u32_e64 s0, 42, v108
	v_lshl_add_u32 v5, v12, 4, 0
	v_sub_f32_e32 v14, v48, v20
	v_fma_f32 v82, v50, 2.0, -v80
	ds_write2_b64 v11, v[69:70], v[73:74] offset1:1
	ds_write2_b64 v18, v[75:76], v[71:72] offset1:1
	;; [unrolled: 1-line block ×4, first 2 shown]
	s_and_saveexec_b32 s1, s0
	s_cbranch_execz .LBB0_17
; %bb.16:
	v_fma_f32 v1, v1, 2.0, -v48
	v_fma_f32 v13, v13, 2.0, -v64
	;; [unrolled: 1-line block ×3, first 2 shown]
	v_sub_f32_e32 v13, v1, v13
	v_fma_f32 v65, v1, 2.0, -v13
	ds_write2_b64 v5, v[65:66], v[13:14] offset1:1
.LBB0_17:
	s_or_b32 exec_lo, exec_lo, s1
	v_sub_f32_e32 v1, v23, v61
	v_sub_f32_e32 v39, v8, v39
	;; [unrolled: 1-line block ×3, first 2 shown]
	v_fma_f32 v34, v55, 2.0, -v34
	v_sub_f32_e32 v35, v10, v35
	v_add_f32_e32 v67, v1, v60
	v_fma_f32 v8, v8, 2.0, -v39
	v_fma_f32 v23, v23, 2.0, -v1
	v_add_f32_e32 v69, v13, v46
	v_fma_f32 v48, v57, 2.0, -v56
	v_fma_f32 v71, v1, 2.0, -v67
	v_sub_f32_e32 v75, v8, v34
	v_fma_f32 v1, v10, 2.0, -v35
	v_fma_f32 v10, v15, 2.0, -v38
	v_sub_f32_e32 v15, v45, v33
	v_fma_f32 v27, v27, 2.0, -v13
	v_fma_f32 v74, v13, 2.0, -v69
	;; [unrolled: 1-line block ×3, first 2 shown]
	v_sub_f32_e32 v79, v1, v10
	v_fma_f32 v8, v45, 2.0, -v15
	v_fma_f32 v10, v17, 2.0, -v44
	v_sub_f32_e32 v13, v37, v25
	v_fma_f32 v47, v59, 2.0, -v58
	v_sub_f32_e32 v68, v27, v48
	;; [unrolled: 2-line block ×3, first 2 shown]
	v_fma_f32 v1, v37, 2.0, -v13
	v_fma_f32 v10, v53, 2.0, -v52
	v_add_f32_e32 v88, v13, v24
	v_lshl_add_u32 v109, v108, 2, 0
	v_sub_f32_e32 v66, v23, v47
	v_fma_f32 v73, v27, 2.0, -v68
	v_add_f32_e32 v76, v39, v22
	v_add_f32_e32 v80, v35, v26
	v_fma_f32 v85, v8, 2.0, -v83
	v_sub_f32_e32 v8, v19, v49
	v_sub_f32_e32 v87, v1, v10
	v_fma_f32 v99, v13, 2.0, -v88
	v_add_nc_u32_e32 v13, 0x800, v109
	v_add_nc_u32_e32 v27, 0xc00, v109
	;; [unrolled: 1-line block ×10, first 2 shown]
	v_fma_f32 v70, v23, 2.0, -v66
	v_fma_f32 v78, v39, 2.0, -v76
	v_add_f32_e32 v84, v15, v32
	v_fma_f32 v82, v35, 2.0, -v80
	v_sub_f32_e32 v10, v21, v51
	v_fma_f32 v17, v41, 2.0, -v40
	v_fma_f32 v98, v1, 2.0, -v87
	;; [unrolled: 1-line block ×3, first 2 shown]
	v_add_f32_e32 v22, v8, v36
	s_waitcnt lgkmcnt(0)
	s_barrier
	buffer_gl0_inv
	ds_read2_b32 v[25:26], v109 offset1:56
	ds_read2_b32 v[23:24], v91 offset0:96 offset1:152
	ds_read2_b32 v[54:55], v13 offset0:48 offset1:104
	;; [unrolled: 1-line block ×12, first 2 shown]
	ds_read2_b32 v[40:41], v72 offset1:56
	ds_read2_b32 v[58:59], v95 offset0:192 offset1:248
	ds_read2_b32 v[50:51], v96 offset0:112 offset1:168
	;; [unrolled: 1-line block ×3, first 2 shown]
	ds_read_b32 v97, v109 offset:7616
	v_fma_f32 v86, v15, 2.0, -v84
	v_fma_f32 v15, v19, 2.0, -v8
	;; [unrolled: 1-line block ×3, first 2 shown]
	v_add_f32_e32 v101, v10, v16
	v_fma_f32 v103, v8, 2.0, -v22
	s_waitcnt lgkmcnt(0)
	v_sub_f32_e32 v21, v15, v17
	v_sub_f32_e32 v100, v19, v1
	;; [unrolled: 1-line block ×3, first 2 shown]
	v_fma_f32 v105, v10, 2.0, -v101
	s_barrier
	v_fma_f32 v102, v15, 2.0, -v21
	v_fma_f32 v104, v19, 2.0, -v100
	v_add_f32_e32 v16, v1, v64
	buffer_gl0_inv
	ds_write2_b64 v0, v[70:71], v[66:67] offset1:1
	ds_write2_b64 v3, v[73:74], v[68:69] offset1:1
	ds_write2_b64 v7, v[77:78], v[75:76] offset1:1
	ds_write2_b64 v9, v[81:82], v[79:80] offset1:1
	ds_write2_b64 v11, v[85:86], v[83:84] offset1:1
	ds_write2_b64 v18, v[98:99], v[87:88] offset1:1
	ds_write2_b64 v62, v[102:103], v[21:22] offset1:1
	ds_write2_b64 v63, v[104:105], v[100:101] offset1:1
	s_and_saveexec_b32 s1, s0
	s_cbranch_execz .LBB0_19
; %bb.18:
	v_fma_f32 v0, v2, 2.0, -v1
	v_fma_f32 v2, v4, 2.0, -v20
	;; [unrolled: 1-line block ×3, first 2 shown]
	v_sub_f32_e32 v15, v0, v2
	v_fma_f32 v0, v0, 2.0, -v15
	ds_write2_b64 v5, v[0:1], v[15:16] offset1:1
.LBB0_19:
	s_or_b32 exec_lo, exec_lo, s1
	v_and_b32_e32 v98, 3, v108
	s_waitcnt lgkmcnt(0)
	s_barrier
	buffer_gl0_inv
	v_lshrrev_b32_e32 v100, 2, v110
	v_mul_u32_u24_e32 v0, 6, v98
	v_lshrrev_b32_e32 v101, 2, v111
	v_lshrrev_b32_e32 v102, 2, v112
	v_lshrrev_b32_e32 v99, 2, v108
	v_lshrrev_b32_e32 v103, 2, v113
	v_lshlrev_b32_e32 v0, 3, v0
	v_mul_u32_u24_e32 v100, 28, v100
	v_mul_u32_u24_e32 v101, 28, v101
	;; [unrolled: 1-line block ×4, first 2 shown]
	s_clause 0x2
	global_load_dwordx4 v[8:11], v0, s[12:13]
	global_load_dwordx4 v[4:7], v0, s[12:13] offset:16
	global_load_dwordx4 v[0:3], v0, s[12:13] offset:32
	ds_read2_b32 v[21:22], v109 offset1:56
	ds_read2_b32 v[17:18], v91 offset0:96 offset1:152
	ds_read2_b32 v[88:89], v13 offset0:48 offset1:104
	;; [unrolled: 1-line block ×12, first 2 shown]
	ds_read2_b32 v[62:63], v72 offset1:56
	ds_read2_b32 v[82:83], v95 offset0:192 offset1:248
	ds_read2_b32 v[72:73], v96 offset0:112 offset1:168
	;; [unrolled: 1-line block ×3, first 2 shown]
	ds_read_b32 v15, v109 offset:7616
	v_mul_u32_u24_e32 v103, 28, v103
	v_or_b32_e32 v104, v100, v98
	v_or_b32_e32 v101, v101, v98
	;; [unrolled: 1-line block ×5, first 2 shown]
	v_lshl_add_u32 v98, v104, 2, 0
	v_lshl_add_u32 v102, v101, 2, 0
	;; [unrolled: 1-line block ×4, first 2 shown]
	s_waitcnt vmcnt(0) lgkmcnt(0)
	s_barrier
	buffer_gl0_inv
	v_cmp_gt_u32_e64 s0, 28, v108
	v_mul_f32_e32 v116, v88, v11
	v_mul_f32_e32 v117, v89, v11
	v_mul_f32_e32 v143, v18, v9
	v_mul_f32_e32 v135, v54, v11
	v_mul_f32_e32 v128, v55, v11
	v_mul_f32_e32 v136, v86, v9
	v_mul_f32_e32 v144, v87, v9
	v_mul_f32_e32 v129, v56, v9
	v_mul_f32_e32 v122, v57, v9
	v_mul_f32_e32 v145, v84, v11
	v_mul_f32_e32 v146, v85, v11
	v_mul_f32_e32 v123, v60, v11
	v_mul_f32_e32 v107, v61, v11
	v_mul_f32_e32 v147, v82, v9
	v_mul_f32_e32 v148, v83, v9
	v_mul_f32_e32 v118, v58, v9
	v_mul_f32_e32 v103, v59, v9
	v_mul_f32_e32 v138, v24, v9
	v_mul_f32_e32 v9, v80, v11
	v_mul_f32_e32 v104, v48, v11
	v_mul_f32_e32 v11, v81, v5
	v_mul_f32_e32 v137, v49, v5
	v_mul_f32_e32 v149, v76, v7
	v_mul_f32_e32 v139, v46, v7
	v_mul_f32_e32 v150, v71, v1
	v_mul_f32_e32 v140, v39, v1
	v_mul_f32_e32 v151, v77, v7
	v_mul_f32_e32 v152, v68, v3
	v_mul_f32_e32 v130, v47, v7
	v_mul_f32_e32 v153, v74, v5
	v_mul_f32_e32 v154, v75, v5
	v_mul_f32_e32 v131, v44, v5
	v_mul_f32_e32 v124, v45, v5
	v_mul_f32_e32 v155, v78, v7
	v_mul_f32_e32 v156, v79, v7
	v_mul_f32_e32 v125, v52, v7
	v_mul_f32_e32 v119, v53, v7
	v_mul_f32_e32 v157, v72, v5
	v_mul_f32_e32 v158, v73, v5
	v_mul_f32_e32 v120, v50, v5
	v_mul_f32_e32 v105, v51, v5
	v_mul_f32_e32 v5, v70, v7
	v_mul_f32_e32 v106, v38, v7
	v_mul_f32_e32 v141, v36, v3
	v_mul_f32_e32 v7, v66, v1
	v_mul_f32_e32 v132, v34, v1
	v_mul_f32_e32 v159, v69, v3
	v_mul_f32_e32 v133, v37, v3
	v_mul_f32_e32 v160, v67, v1
	v_mul_f32_e32 v161, v62, v3
	v_mul_f32_e32 v162, v64, v1
	v_fma_f32 v142, v54, v10, -v116
	v_mul_f32_e32 v116, v63, v3
	v_mul_f32_e32 v126, v35, v1
	;; [unrolled: 1-line block ×3, first 2 shown]
	v_fma_f32 v134, v55, v10, -v117
	v_mul_f32_e32 v121, v42, v1
	v_mul_f32_e32 v117, v65, v1
	;; [unrolled: 1-line block ×4, first 2 shown]
	v_fmac_f32_e32 v135, v88, v10
	v_fmac_f32_e32 v128, v89, v10
	v_mul_f32_e32 v88, v41, v3
	v_fma_f32 v136, v56, v8, -v136
	v_fma_f32 v89, v57, v8, -v144
	v_fmac_f32_e32 v129, v86, v8
	v_mul_f32_e32 v55, v97, v3
	v_fma_f32 v86, v60, v10, -v145
	v_fma_f32 v57, v61, v10, -v146
	;; [unrolled: 1-line block ×4, first 2 shown]
	v_fmac_f32_e32 v118, v82, v8
	v_fmac_f32_e32 v103, v83, v8
	v_fma_f32 v82, v24, v8, -v143
	v_fmac_f32_e32 v138, v18, v8
	v_fma_f32 v83, v49, v4, -v11
	;; [unrolled: 2-line block ×3, first 2 shown]
	v_fmac_f32_e32 v139, v76, v6
	v_fmac_f32_e32 v130, v77, v6
	v_fmac_f32_e32 v131, v74, v4
	v_fmac_f32_e32 v120, v72, v4
	v_fmac_f32_e32 v106, v70, v6
	v_fma_f32 v72, v39, v0, -v150
	v_fmac_f32_e32 v140, v71, v0
	v_fma_f32 v71, v36, v2, -v152
	v_fma_f32 v70, v37, v2, -v159
	v_fmac_f32_e32 v141, v68, v2
	v_fmac_f32_e32 v133, v69, v2
	v_fma_f32 v69, v34, v0, -v7
	v_fma_f32 v68, v35, v0, -v160
	v_fmac_f32_e32 v132, v66, v0
	v_fma_f32 v66, v40, v2, -v161
	v_fma_f32 v59, v42, v0, -v162
	;; [unrolled: 1-line block ×3, first 2 shown]
	v_fmac_f32_e32 v122, v87, v8
	v_fmac_f32_e32 v123, v84, v10
	v_fma_f32 v18, v48, v10, -v9
	v_fmac_f32_e32 v104, v80, v10
	v_fma_f32 v80, v47, v6, -v151
	v_fma_f32 v76, v44, v4, -v153
	v_fmac_f32_e32 v124, v75, v4
	v_fma_f32 v74, v52, v6, -v155
	;; [unrolled: 3-line block ×3, first 2 shown]
	v_fma_f32 v48, v51, v4, -v158
	v_fmac_f32_e32 v126, v67, v0
	v_fmac_f32_e32 v127, v62, v2
	v_fma_f32 v50, v43, v0, -v117
	v_fma_f32 v51, v97, v2, -v1
	v_fmac_f32_e32 v107, v85, v10
	v_fma_f32 v61, v45, v4, -v154
	v_fmac_f32_e32 v119, v79, v6
	v_fmac_f32_e32 v105, v73, v4
	v_fma_f32 v49, v38, v6, -v5
	v_fmac_f32_e32 v121, v64, v0
	v_fmac_f32_e32 v88, v63, v2
	;; [unrolled: 1-line block ×4, first 2 shown]
	v_add_f32_e32 v0, v82, v71
	v_sub_f32_e32 v1, v138, v141
	v_add_f32_e32 v2, v142, v72
	v_sub_f32_e32 v3, v135, v140
	;; [unrolled: 2-line block ×5, first 2 shown]
	v_sub_f32_e32 v11, v130, v131
	v_add_f32_e32 v15, v89, v66
	v_add_f32_e32 v34, v86, v68
	;; [unrolled: 1-line block ×5, first 2 shown]
	v_sub_f32_e32 v24, v122, v127
	v_sub_f32_e32 v35, v123, v126
	;; [unrolled: 1-line block ×3, first 2 shown]
	v_add_f32_e32 v44, v56, v51
	v_add_f32_e32 v45, v18, v50
	;; [unrolled: 1-line block ×3, first 2 shown]
	v_sub_f32_e32 v40, v107, v121
	v_add_f32_e32 v41, v53, v52
	v_sub_f32_e32 v42, v119, v120
	v_sub_f32_e32 v43, v118, v88
	v_add_f32_e32 v64, v2, v0
	v_sub_f32_e32 v65, v2, v0
	v_sub_f32_e32 v0, v0, v4
	;; [unrolled: 1-line block ×3, first 2 shown]
	v_add_f32_e32 v67, v5, v3
	v_sub_f32_e32 v73, v5, v3
	v_sub_f32_e32 v3, v3, v1
	v_add_f32_e32 v75, v8, v6
	v_add_f32_e32 v78, v11, v9
	v_sub_f32_e32 v79, v11, v9
	v_sub_f32_e32 v9, v9, v7
	v_add_f32_e32 v84, v34, v15
	v_add_f32_e32 v116, v39, v38
	v_add_f32_e32 v46, v48, v49
	v_sub_f32_e32 v47, v104, v54
	v_sub_f32_e32 v62, v106, v105
	;; [unrolled: 1-line block ×6, first 2 shown]
	v_add_f32_e32 v87, v37, v35
	v_sub_f32_e32 v97, v37, v35
	v_sub_f32_e32 v35, v35, v24
	v_add_f32_e32 v145, v45, v44
	v_sub_f32_e32 v5, v1, v5
	v_sub_f32_e32 v11, v7, v11
	;; [unrolled: 1-line block ×8, first 2 shown]
	v_add_f32_e32 v143, v42, v40
	v_sub_f32_e32 v144, v42, v40
	v_sub_f32_e32 v40, v40, v43
	v_add_f32_e32 v4, v4, v64
	v_mul_f32_e32 v0, 0x3f4a47b2, v0
	v_mul_f32_e32 v64, 0xbf08b237, v73
	v_add_f32_e32 v1, v67, v1
	v_mul_f32_e32 v67, 0x3f5ff5aa, v3
	v_mul_f32_e32 v73, 0x3d64c772, v2
	v_add_f32_e32 v10, v10, v75
	v_add_f32_e32 v7, v78, v7
	v_mul_f32_e32 v78, 0xbf08b237, v79
	v_mul_f32_e32 v79, 0x3f5ff5aa, v9
	v_add_f32_e32 v36, v36, v84
	v_add_f32_e32 v41, v41, v116
	v_sub_f32_e32 v37, v24, v37
	v_sub_f32_e32 v146, v45, v44
	;; [unrolled: 1-line block ×4, first 2 shown]
	v_add_f32_e32 v147, v62, v47
	v_sub_f32_e32 v148, v62, v47
	v_sub_f32_e32 v47, v47, v63
	v_mul_f32_e32 v6, 0x3f4a47b2, v6
	v_mul_f32_e32 v75, 0x3d64c772, v8
	v_add_f32_e32 v24, v87, v24
	v_add_f32_e32 v46, v46, v145
	v_mul_f32_e32 v87, 0xbf08b237, v97
	v_mul_f32_e32 v97, 0x3f5ff5aa, v35
	v_sub_f32_e32 v42, v43, v42
	v_add_f32_e32 v43, v143, v43
	v_mul_f32_e32 v15, 0x3f4a47b2, v15
	v_mul_f32_e32 v84, 0x3d64c772, v34
	;; [unrolled: 1-line block ×6, first 2 shown]
	v_add_f32_e32 v25, v25, v4
	v_fmamk_f32 v2, v2, 0x3d64c772, v0
	v_fma_f32 v3, 0x3f5ff5aa, v3, -v64
	v_fmamk_f32 v64, v5, 0x3eae86e6, v64
	v_fma_f32 v5, 0xbeae86e6, v5, -v67
	v_fma_f32 v0, 0xbf3bfb3b, v65, -v0
	;; [unrolled: 1-line block ×3, first 2 shown]
	v_add_f32_e32 v26, v26, v10
	v_fmamk_f32 v73, v11, 0x3eae86e6, v78
	v_fma_f32 v9, 0x3f5ff5aa, v9, -v78
	v_fma_f32 v11, 0xbeae86e6, v11, -v79
	v_add_f32_e32 v32, v32, v36
	v_add_f32_e32 v33, v33, v41
	v_sub_f32_e32 v62, v63, v62
	v_add_f32_e32 v63, v147, v63
	v_mul_f32_e32 v44, 0x3f4a47b2, v44
	v_mul_f32_e32 v145, 0x3d64c772, v45
	;; [unrolled: 1-line block ×4, first 2 shown]
	v_fmamk_f32 v8, v8, 0x3d64c772, v6
	v_fma_f32 v67, 0x3f3bfb3b, v77, -v75
	v_fma_f32 v6, 0xbf3bfb3b, v77, -v6
	v_fma_f32 v35, 0x3f5ff5aa, v35, -v87
	v_fmamk_f32 v77, v37, 0x3eae86e6, v87
	v_fma_f32 v37, 0xbeae86e6, v37, -v97
	v_add_f32_e32 v23, v23, v46
	v_fmamk_f32 v34, v34, 0x3d64c772, v15
	v_fma_f32 v75, 0x3f3bfb3b, v85, -v84
	v_fma_f32 v15, 0xbf3bfb3b, v85, -v15
	v_fmamk_f32 v39, v39, 0x3d64c772, v38
	v_fma_f32 v78, 0x3f3bfb3b, v117, -v116
	v_fma_f32 v38, 0xbf3bfb3b, v117, -v38
	;; [unrolled: 1-line block ×3, first 2 shown]
	v_fmamk_f32 v79, v42, 0x3eae86e6, v143
	v_fma_f32 v42, 0xbeae86e6, v42, -v144
	v_fmamk_f32 v4, v4, 0xbf955555, v25
	v_fmac_f32_e32 v64, 0x3ee1c552, v1
	v_fmac_f32_e32 v3, 0x3ee1c552, v1
	;; [unrolled: 1-line block ×3, first 2 shown]
	v_fmamk_f32 v1, v10, 0xbf955555, v26
	v_fmac_f32_e32 v73, 0x3ee1c552, v7
	v_fmac_f32_e32 v9, 0x3ee1c552, v7
	;; [unrolled: 1-line block ×3, first 2 shown]
	v_fmamk_f32 v7, v36, 0xbf955555, v32
	v_fmamk_f32 v10, v41, 0xbf955555, v33
	;; [unrolled: 1-line block ×3, first 2 shown]
	v_fma_f32 v84, 0x3f3bfb3b, v146, -v145
	v_fma_f32 v44, 0xbf3bfb3b, v146, -v44
	;; [unrolled: 1-line block ×3, first 2 shown]
	v_fmamk_f32 v85, v62, 0x3eae86e6, v147
	v_fma_f32 v62, 0xbeae86e6, v62, -v148
	v_fmac_f32_e32 v77, 0x3ee1c552, v24
	v_fmac_f32_e32 v35, 0x3ee1c552, v24
	;; [unrolled: 1-line block ×3, first 2 shown]
	v_fmamk_f32 v24, v46, 0xbf955555, v23
	v_fmac_f32_e32 v79, 0x3ee1c552, v43
	v_fmac_f32_e32 v40, 0x3ee1c552, v43
	;; [unrolled: 1-line block ×3, first 2 shown]
	v_add_f32_e32 v2, v2, v4
	v_add_f32_e32 v0, v0, v4
	;; [unrolled: 1-line block ×12, first 2 shown]
	v_fmac_f32_e32 v85, 0x3ee1c552, v63
	v_fmac_f32_e32 v47, 0x3ee1c552, v63
	;; [unrolled: 1-line block ×3, first 2 shown]
	v_add_f32_e32 v38, v45, v24
	v_add_f32_e32 v41, v84, v24
	;; [unrolled: 1-line block ×5, first 2 shown]
	v_sub_f32_e32 v0, v0, v5
	v_add_f32_e32 v5, v11, v1
	v_sub_f32_e32 v1, v1, v11
	v_sub_f32_e32 v11, v34, v35
	v_add_f32_e32 v34, v35, v34
	v_add_f32_e32 v35, v37, v7
	v_sub_f32_e32 v7, v7, v37
	v_sub_f32_e32 v37, v39, v40
	v_add_f32_e32 v39, v40, v39
	v_add_f32_e32 v40, v42, v10
	v_sub_f32_e32 v10, v10, v42
	v_add_f32_e32 v42, v79, v15
	v_sub_f32_e32 v45, v4, v3
	v_lshl_add_u32 v116, v12, 2, 0
	v_add_f32_e32 v3, v3, v4
	v_sub_f32_e32 v2, v2, v64
	v_sub_f32_e32 v15, v15, v79
	v_add_f32_e32 v4, v73, v8
	v_sub_f32_e32 v46, v36, v9
	v_add_f32_e32 v9, v9, v36
	;; [unrolled: 2-line block ×3, first 2 shown]
	v_sub_f32_e32 v6, v6, v77
	v_sub_f32_e32 v64, v41, v47
	v_add_f32_e32 v41, v47, v41
	v_add_f32_e32 v47, v62, v24
	v_sub_f32_e32 v24, v24, v62
	v_add_f32_e32 v62, v85, v38
	v_lshl_add_u32 v63, v100, 2, 0
	v_sub_f32_e32 v117, v38, v85
	ds_write2_b32 v99, v25, v43 offset1:4
	ds_write2_b32 v99, v44, v45 offset0:8 offset1:12
	ds_write2_b32 v99, v3, v0 offset0:16 offset1:20
	ds_write_b32 v99, v2 offset:96
	ds_write2_b32 v98, v26, v4 offset1:4
	ds_write2_b32 v98, v5, v46 offset0:8 offset1:12
	ds_write2_b32 v98, v9, v1 offset0:16 offset1:20
	ds_write_b32 v98, v8 offset:96
	;; [unrolled: 4-line block ×5, first 2 shown]
	s_waitcnt lgkmcnt(0)
	s_barrier
	buffer_gl0_inv
	ds_read2_b32 v[25:26], v96 offset0:84 offset1:140
	ds_read2_b32 v[23:24], v94 offset0:68 offset1:124
	;; [unrolled: 1-line block ×7, first 2 shown]
	v_add_nc_u32_e32 v62, 0x600, v109
	ds_read2_b32 v[4:5], v92 offset0:4 offset1:60
	ds_read2_b32 v[32:33], v13 offset0:104 offset1:160
	;; [unrolled: 1-line block ×3, first 2 shown]
	v_add_nc_u32_e32 v13, 0xa00, v109
	v_add_nc_u32_e32 v75, 0x1a00, v109
	ds_read2_b32 v[34:35], v27 offset0:72 offset1:128
	ds_read_b32 v27, v116
	ds_read_b32 v15, v109 offset:7504
	ds_read2_b32 v[46:47], v109 offset1:56
	ds_read2_b32 v[44:45], v109 offset0:112 offset1:168
	ds_read2_b32 v[42:43], v62 offset0:120 offset1:176
	;; [unrolled: 1-line block ×4, first 2 shown]
	s_and_saveexec_b32 s1, s0
	s_cbranch_execz .LBB0_21
; %bb.20:
	ds_read_b32 v117, v109 offset:3808
	ds_read_b32 v14, v109 offset:7728
.LBB0_21:
	s_or_b32 exec_lo, exec_lo, s1
	v_add_f32_e32 v64, v138, v141
	v_add_f32_e32 v65, v135, v140
	v_sub_f32_e32 v67, v82, v71
	v_add_f32_e32 v71, v137, v139
	v_sub_f32_e32 v72, v142, v72
	v_sub_f32_e32 v73, v81, v83
	v_add_f32_e32 v77, v65, v64
	v_sub_f32_e32 v78, v65, v64
	v_sub_f32_e32 v64, v64, v71
	;; [unrolled: 1-line block ×3, first 2 shown]
	v_add_f32_e32 v79, v73, v72
	v_add_f32_e32 v71, v71, v77
	v_sub_f32_e32 v77, v73, v72
	v_sub_f32_e32 v73, v67, v73
	;; [unrolled: 1-line block ×3, first 2 shown]
	v_add_f32_e32 v67, v79, v67
	v_add_f32_e32 v21, v21, v71
	v_mul_f32_e32 v79, 0x3d64c772, v65
	v_mul_f32_e32 v77, 0xbf08b237, v77
	;; [unrolled: 1-line block ×4, first 2 shown]
	v_fmamk_f32 v71, v71, 0xbf955555, v21
	v_fma_f32 v79, 0x3f3bfb3b, v78, -v79
	v_fma_f32 v72, 0x3f5ff5aa, v72, -v77
	v_fmamk_f32 v65, v65, 0x3d64c772, v64
	v_fma_f32 v64, 0xbf3bfb3b, v78, -v64
	v_fmamk_f32 v78, v73, 0x3eae86e6, v77
	v_add_f32_e32 v77, v79, v71
	v_fmac_f32_e32 v72, 0x3ee1c552, v67
	v_fma_f32 v73, 0xbeae86e6, v73, -v81
	v_add_f32_e32 v81, v128, v132
	v_add_f32_e32 v82, v131, v130
	v_sub_f32_e32 v69, v134, v69
	v_add_f32_e32 v79, v72, v77
	v_sub_f32_e32 v72, v77, v72
	;; [unrolled: 2-line block ×3, first 2 shown]
	v_sub_f32_e32 v70, v136, v70
	v_add_f32_e32 v65, v65, v71
	v_fmac_f32_e32 v78, 0x3ee1c552, v67
	v_add_f32_e32 v80, v81, v77
	v_sub_f32_e32 v83, v81, v77
	v_sub_f32_e32 v77, v77, v82
	v_sub_f32_e32 v81, v82, v81
	v_add_f32_e32 v84, v76, v69
	v_add_f32_e32 v80, v82, v80
	v_sub_f32_e32 v82, v76, v69
	v_sub_f32_e32 v76, v70, v76
	;; [unrolled: 1-line block ×3, first 2 shown]
	v_add_f32_e32 v70, v84, v70
	v_add_f32_e32 v22, v22, v80
	v_mul_f32_e32 v84, 0x3d64c772, v81
	v_mul_f32_e32 v82, 0xbf08b237, v82
	;; [unrolled: 1-line block ×4, first 2 shown]
	v_fmamk_f32 v80, v80, 0xbf955555, v22
	v_fma_f32 v84, 0x3f3bfb3b, v83, -v84
	v_fma_f32 v69, 0x3f5ff5aa, v69, -v82
	v_fmamk_f32 v81, v81, 0x3d64c772, v77
	v_fma_f32 v77, 0xbf3bfb3b, v83, -v77
	v_fmamk_f32 v83, v76, 0x3eae86e6, v82
	v_add_f32_e32 v82, v84, v80
	v_fmac_f32_e32 v69, 0x3ee1c552, v70
	v_fmac_f32_e32 v73, 0x3ee1c552, v67
	v_sub_f32_e32 v67, v65, v78
	v_add_f32_e32 v81, v81, v80
	v_add_f32_e32 v77, v77, v80
	;; [unrolled: 1-line block ×4, first 2 shown]
	v_sub_f32_e32 v69, v82, v69
	v_add_f32_e32 v80, v122, v127
	v_add_f32_e32 v82, v123, v126
	;; [unrolled: 1-line block ×3, first 2 shown]
	v_sub_f32_e32 v68, v86, v68
	v_sub_f32_e32 v61, v74, v61
	v_fma_f32 v76, 0xbeae86e6, v76, -v85
	v_add_f32_e32 v74, v82, v80
	v_sub_f32_e32 v66, v89, v66
	v_sub_f32_e32 v85, v82, v80
	;; [unrolled: 1-line block ×4, first 2 shown]
	v_add_f32_e32 v86, v61, v68
	v_add_f32_e32 v74, v84, v74
	v_sub_f32_e32 v84, v61, v68
	v_sub_f32_e32 v61, v66, v61
	;; [unrolled: 1-line block ×3, first 2 shown]
	v_add_f32_e32 v66, v86, v66
	v_add_f32_e32 v19, v19, v74
	v_mul_f32_e32 v86, 0x3d64c772, v82
	v_mul_f32_e32 v84, 0xbf08b237, v84
	v_mul_f32_e32 v80, 0x3f4a47b2, v80
	v_mul_f32_e32 v87, 0x3f5ff5aa, v68
	v_fmamk_f32 v74, v74, 0xbf955555, v19
	v_fma_f32 v86, 0x3f3bfb3b, v85, -v86
	v_fma_f32 v68, 0x3f5ff5aa, v68, -v84
	v_add_f32_e32 v64, v64, v71
	v_fmac_f32_e32 v83, 0x3ee1c552, v70
	v_fmac_f32_e32 v76, 0x3ee1c552, v70
	v_fmamk_f32 v82, v82, 0x3d64c772, v80
	v_fma_f32 v80, 0xbf3bfb3b, v85, -v80
	v_fmamk_f32 v85, v61, 0x3eae86e6, v84
	v_fma_f32 v61, 0xbeae86e6, v61, -v87
	v_add_f32_e32 v84, v86, v74
	v_fmac_f32_e32 v68, 0x3ee1c552, v66
	v_sub_f32_e32 v71, v64, v73
	v_add_f32_e32 v64, v73, v64
	v_sub_f32_e32 v70, v81, v83
	v_sub_f32_e32 v73, v77, v76
	v_fmac_f32_e32 v85, 0x3ee1c552, v66
	v_fmac_f32_e32 v61, 0x3ee1c552, v66
	v_add_f32_e32 v66, v76, v77
	v_add_f32_e32 v76, v83, v81
	;; [unrolled: 1-line block ×3, first 2 shown]
	v_sub_f32_e32 v68, v84, v68
	v_add_f32_e32 v83, v118, v88
	v_add_f32_e32 v84, v107, v121
	v_sub_f32_e32 v58, v58, v60
	v_add_f32_e32 v60, v120, v119
	v_sub_f32_e32 v57, v57, v59
	v_sub_f32_e32 v52, v52, v53
	v_add_f32_e32 v53, v84, v83
	v_sub_f32_e32 v59, v84, v83
	v_sub_f32_e32 v83, v83, v60
	;; [unrolled: 1-line block ×3, first 2 shown]
	v_add_f32_e32 v86, v52, v57
	v_add_f32_e32 v53, v60, v53
	v_sub_f32_e32 v60, v52, v57
	v_sub_f32_e32 v52, v58, v52
	;; [unrolled: 1-line block ×3, first 2 shown]
	v_add_f32_e32 v58, v86, v58
	v_add_f32_e32 v20, v20, v53
	v_mul_f32_e32 v83, 0x3f4a47b2, v83
	v_mul_f32_e32 v86, 0x3d64c772, v84
	;; [unrolled: 1-line block ×4, first 2 shown]
	v_fmamk_f32 v53, v53, 0xbf955555, v20
	v_fmamk_f32 v84, v84, 0x3d64c772, v83
	v_fma_f32 v86, 0x3f3bfb3b, v59, -v86
	v_fma_f32 v57, 0x3f5ff5aa, v57, -v60
	v_add_f32_e32 v55, v103, v55
	v_add_f32_e32 v54, v104, v54
	;; [unrolled: 1-line block ×3, first 2 shown]
	v_fma_f32 v59, 0xbf3bfb3b, v59, -v83
	v_fmamk_f32 v83, v52, 0x3eae86e6, v60
	v_add_f32_e32 v60, v84, v53
	v_add_f32_e32 v84, v86, v53
	v_fmac_f32_e32 v57, 0x3ee1c552, v58
	v_sub_f32_e32 v51, v56, v51
	v_add_f32_e32 v56, v105, v106
	v_sub_f32_e32 v18, v18, v50
	v_sub_f32_e32 v48, v49, v48
	v_add_f32_e32 v49, v54, v55
	v_sub_f32_e32 v77, v82, v85
	v_add_f32_e32 v53, v59, v53
	v_add_f32_e32 v59, v85, v82
	;; [unrolled: 1-line block ×3, first 2 shown]
	v_sub_f32_e32 v57, v84, v57
	v_sub_f32_e32 v50, v54, v55
	;; [unrolled: 1-line block ×4, first 2 shown]
	v_add_f32_e32 v84, v48, v18
	v_add_f32_e32 v49, v56, v49
	v_sub_f32_e32 v56, v48, v18
	v_sub_f32_e32 v18, v18, v51
	;; [unrolled: 1-line block ×3, first 2 shown]
	v_add_f32_e32 v51, v84, v51
	v_add_f32_e32 v17, v17, v49
	v_mul_f32_e32 v55, 0x3f4a47b2, v55
	v_mul_f32_e32 v84, 0x3d64c772, v54
	;; [unrolled: 1-line block ×4, first 2 shown]
	v_fma_f32 v52, 0xbeae86e6, v52, -v87
	v_fmamk_f32 v49, v49, 0xbf955555, v17
	v_fmamk_f32 v54, v54, 0x3d64c772, v55
	v_fma_f32 v84, 0x3f3bfb3b, v50, -v84
	v_fma_f32 v50, 0xbf3bfb3b, v50, -v55
	v_fmamk_f32 v55, v48, 0x3eae86e6, v56
	v_fma_f32 v18, 0x3f5ff5aa, v18, -v56
	v_fma_f32 v48, 0xbeae86e6, v48, -v85
	v_add_f32_e32 v74, v80, v74
	v_fmac_f32_e32 v83, 0x3ee1c552, v58
	v_fmac_f32_e32 v52, 0x3ee1c552, v58
	v_add_f32_e32 v54, v54, v49
	v_add_f32_e32 v56, v84, v49
	;; [unrolled: 1-line block ×3, first 2 shown]
	v_fmac_f32_e32 v55, 0x3ee1c552, v51
	v_fmac_f32_e32 v48, 0x3ee1c552, v51
	v_fmac_f32_e32 v18, 0x3ee1c552, v51
	v_sub_f32_e32 v80, v74, v61
	v_add_f32_e32 v58, v61, v74
	v_sub_f32_e32 v61, v60, v83
	v_sub_f32_e32 v74, v53, v52
	v_add_f32_e32 v50, v52, v53
	v_add_f32_e32 v51, v83, v60
	v_sub_f32_e32 v52, v54, v55
	v_sub_f32_e32 v53, v49, v48
	v_add_f32_e32 v60, v18, v56
	v_sub_f32_e32 v18, v56, v18
	v_add_f32_e32 v48, v48, v49
	v_add_f32_e32 v118, v55, v54
	s_waitcnt lgkmcnt(0)
	s_barrier
	buffer_gl0_inv
	ds_write2_b32 v99, v21, v67 offset1:4
	ds_write2_b32 v99, v71, v79 offset0:8 offset1:12
	ds_write2_b32 v99, v72, v64 offset0:16 offset1:20
	ds_write_b32 v99, v65 offset:96
	ds_write2_b32 v98, v22, v70 offset1:4
	ds_write2_b32 v98, v73, v78 offset0:8 offset1:12
	ds_write2_b32 v98, v69, v66 offset0:16 offset1:20
	ds_write_b32 v98, v76 offset:96
	;; [unrolled: 4-line block ×5, first 2 shown]
	v_add_nc_u32_e32 v17, 0xe00, v109
	s_waitcnt lgkmcnt(0)
	s_barrier
	buffer_gl0_inv
	v_add_nc_u32_e32 v18, 0x1000, v109
	ds_read2_b32 v[70:71], v17 offset0:84 offset1:140
	v_add_nc_u32_e32 v17, 0x200, v109
	v_add_nc_u32_e32 v19, 0x400, v109
	ds_read2_b32 v[54:55], v109 offset1:56
	ds_read2_b32 v[50:51], v109 offset0:112 offset1:168
	ds_read2_b32 v[72:73], v18 offset0:68 offset1:124
	v_add_nc_u32_e32 v20, 0x1400, v109
	ds_read2_b32 v[56:57], v17 offset0:96 offset1:152
	ds_read2_b32 v[66:67], v18 offset0:180 offset1:236
	;; [unrolled: 1-line block ×3, first 2 shown]
	v_add_nc_u32_e32 v19, 0x800, v109
	v_add_nc_u32_e32 v21, 0x1800, v109
	;; [unrolled: 1-line block ×3, first 2 shown]
	ds_read2_b32 v[68:69], v20 offset0:36 offset1:92
	ds_read2_b32 v[60:61], v20 offset0:148 offset1:204
	;; [unrolled: 1-line block ×9, first 2 shown]
	ds_read_b32 v119, v116
	ds_read_b32 v120, v109 offset:7504
	s_and_saveexec_b32 s1, s0
	s_cbranch_execz .LBB0_23
; %bb.22:
	ds_read_b32 v118, v109 offset:3808
	ds_read_b32 v16, v109 offset:7728
.LBB0_23:
	s_or_b32 exec_lo, exec_lo, s1
	v_lshrrev_b16 v74, 2, v111
	v_lshrrev_b16 v13, 2, v110
	;; [unrolled: 1-line block ×3, first 2 shown]
	v_subrev_nc_u32_e32 v75, 28, v108
	v_lshrrev_b16 v77, 2, v113
	v_and_b32_e32 v74, 63, v74
	v_and_b32_e32 v13, 63, v13
	;; [unrolled: 1-line block ×3, first 2 shown]
	v_mov_b32_e32 v123, 0x4925
	v_mov_b32_e32 v122, 0
	v_mul_lo_u16 v74, v74, 37
	v_mul_lo_u16 v13, v13, 37
	v_cndmask_b32_e64 v121, v75, v108, s0
	v_mul_lo_u16 v76, v76, 37
	v_mul_u32_u24_sdwa v77, v77, v123 dst_sel:DWORD dst_unused:UNUSED_PAD src0_sel:WORD_0 src1_sel:DWORD
	v_lshrrev_b16 v125, 8, v74
	v_lshrrev_b16 v124, 8, v13
	;; [unrolled: 1-line block ×3, first 2 shown]
	v_lshlrev_b64 v[74:75], 3, v[121:122]
	v_lshrrev_b16 v122, 8, v76
	v_mul_lo_u16 v79, v125, 28
	v_lshrrev_b16 v76, 2, v115
	v_lshrrev_b32_e32 v126, 17, v77
	v_mul_u32_u24_sdwa v13, v13, v123 dst_sel:DWORD dst_unused:UNUSED_PAD src0_sel:WORD_0 src1_sel:DWORD
	v_mul_lo_u16 v78, v124, 28
	v_sub_nc_u16 v128, v111, v79
	v_lshrrev_b16 v79, 2, v90
	v_mul_u32_u24_sdwa v76, v76, v123 dst_sel:DWORD dst_unused:UNUSED_PAD src0_sel:WORD_0 src1_sel:DWORD
	v_lshrrev_b32_e32 v130, 17, v13
	v_mul_lo_u16 v81, v122, 28
	v_mov_b32_e32 v98, 3
	v_mul_u32_u24_sdwa v77, v79, v123 dst_sel:DWORD dst_unused:UNUSED_PAD src0_sel:WORD_0 src1_sel:DWORD
	v_lshrrev_b32_e32 v131, 17, v76
	v_mul_lo_u16 v79, v126, 28
	v_sub_nc_u16 v127, v110, v78
	v_mul_lo_u16 v82, v130, 28
	v_lshrrev_b32_e32 v132, 17, v77
	v_mul_lo_u16 v83, v131, 28
	v_add_co_u32 v74, s1, s12, v74
	v_sub_nc_u16 v129, v112, v81
	v_mul_lo_u16 v84, v132, 28
	v_add_co_ci_u32_e64 v75, s1, s13, v75, s1
	v_sub_nc_u16 v133, v113, v79
	v_lshlrev_b32_sdwa v78, v98, v127 dst_sel:DWORD dst_unused:UNUSED_PAD src0_sel:DWORD src1_sel:BYTE_0
	v_sub_nc_u16 v136, v90, v84
	v_add_nc_u16 v90, v108, 0x1f8
	v_sub_nc_u16 v134, v114, v82
	v_lshlrev_b32_sdwa v80, v98, v128 dst_sel:DWORD dst_unused:UNUSED_PAD src0_sel:DWORD src1_sel:BYTE_0
	v_sub_nc_u16 v135, v115, v83
	v_lshlrev_b32_sdwa v13, v98, v129 dst_sel:DWORD dst_unused:UNUSED_PAD src0_sel:DWORD src1_sel:BYTE_0
	s_clause 0x3
	global_load_dwordx2 v[76:77], v[74:75], off offset:192
	global_load_dwordx2 v[78:79], v78, s[12:13] offset:192
	global_load_dwordx2 v[80:81], v80, s[12:13] offset:192
	;; [unrolled: 1-line block ×3, first 2 shown]
	v_lshlrev_b32_sdwa v13, v98, v133 dst_sel:DWORD dst_unused:UNUSED_PAD src0_sel:DWORD src1_sel:WORD_0
	v_lshrrev_b16 v91, 2, v12
	v_lshrrev_b16 v92, 2, v90
	v_add_nc_u16 v93, v108, 0x230
	v_lshlrev_b32_sdwa v84, v98, v134 dst_sel:DWORD dst_unused:UNUSED_PAD src0_sel:DWORD src1_sel:WORD_0
	v_lshlrev_b32_sdwa v86, v98, v135 dst_sel:DWORD dst_unused:UNUSED_PAD src0_sel:DWORD src1_sel:WORD_0
	;; [unrolled: 1-line block ×3, first 2 shown]
	v_add_nc_u16 v94, v108, 0x268
	s_clause 0x3
	global_load_dwordx2 v[82:83], v13, s[12:13] offset:192
	global_load_dwordx2 v[84:85], v84, s[12:13] offset:192
	;; [unrolled: 1-line block ×4, first 2 shown]
	v_mul_u32_u24_sdwa v13, v91, v123 dst_sel:DWORD dst_unused:UNUSED_PAD src0_sel:WORD_0 src1_sel:DWORD
	v_mul_u32_u24_sdwa v91, v92, v123 dst_sel:DWORD dst_unused:UNUSED_PAD src0_sel:WORD_0 src1_sel:DWORD
	v_lshrrev_b16 v92, 2, v93
	v_lshrrev_b16 v95, 2, v94
	v_add_nc_u16 v96, v108, 0x2a0
	v_lshrrev_b32_e32 v137, 17, v13
	v_lshrrev_b32_e32 v138, 17, v91
	v_mul_u32_u24_sdwa v13, v92, v123 dst_sel:DWORD dst_unused:UNUSED_PAD src0_sel:WORD_0 src1_sel:DWORD
	v_mul_u32_u24_sdwa v91, v95, v123 dst_sel:DWORD dst_unused:UNUSED_PAD src0_sel:WORD_0 src1_sel:DWORD
	v_lshrrev_b16 v92, 2, v96
	v_mul_lo_u16 v95, v137, 28
	v_mul_lo_u16 v97, v138, 28
	v_lshrrev_b32_e32 v139, 17, v13
	v_lshrrev_b32_e32 v140, 17, v91
	v_add_nc_u16 v99, v108, 0x310
	v_sub_nc_u16 v141, v12, v95
	v_sub_nc_u16 v142, v90, v97
	v_mul_lo_u16 v12, v139, 28
	v_mul_lo_u16 v90, v140, 28
	v_add_nc_u16 v100, v108, 0x348
	v_or_b32_e32 v101, 0x380, v108
	v_mul_u32_u24_sdwa v13, v92, v123 dst_sel:DWORD dst_unused:UNUSED_PAD src0_sel:WORD_0 src1_sel:DWORD
	v_sub_nc_u16 v144, v93, v12
	v_add_nc_u16 v12, v108, 0x2d8
	v_lshrrev_b16 v93, 2, v99
	v_sub_nc_u16 v145, v94, v90
	v_lshrrev_b16 v94, 2, v100
	v_lshrrev_b16 v95, 2, v101
	;; [unrolled: 1-line block ×3, first 2 shown]
	v_mul_u32_u24_sdwa v93, v93, v123 dst_sel:DWORD dst_unused:UNUSED_PAD src0_sel:WORD_0 src1_sel:DWORD
	v_lshrrev_b32_e32 v143, 17, v13
	v_mul_u32_u24_sdwa v94, v94, v123 dst_sel:DWORD dst_unused:UNUSED_PAD src0_sel:WORD_0 src1_sel:DWORD
	v_mul_u32_u24_sdwa v95, v95, v123 dst_sel:DWORD dst_unused:UNUSED_PAD src0_sel:WORD_0 src1_sel:DWORD
	;; [unrolled: 1-line block ×3, first 2 shown]
	v_lshrrev_b32_e32 v147, 17, v93
	v_mul_lo_u16 v90, v143, 28
	v_lshrrev_b32_e32 v148, 17, v94
	v_lshrrev_b32_e32 v149, 17, v95
	v_lshrrev_b32_e32 v146, 17, v92
	v_mul_lo_u16 v105, v147, 28
	v_sub_nc_u16 v150, v96, v90
	v_mul_lo_u16 v106, v148, 28
	v_mul_lo_u16 v107, v149, 28
	;; [unrolled: 1-line block ×3, first 2 shown]
	v_lshlrev_b32_sdwa v13, v98, v141 dst_sel:DWORD dst_unused:UNUSED_PAD src0_sel:DWORD src1_sel:WORD_0
	v_lshlrev_b32_sdwa v91, v98, v142 dst_sel:DWORD dst_unused:UNUSED_PAD src0_sel:DWORD src1_sel:WORD_0
	v_sub_nc_u16 v152, v99, v105
	v_lshlrev_b32_sdwa v102, v98, v144 dst_sel:DWORD dst_unused:UNUSED_PAD src0_sel:DWORD src1_sel:WORD_0
	v_sub_nc_u16 v151, v12, v104
	v_sub_nc_u16 v153, v100, v106
	v_lshlrev_b32_sdwa v103, v98, v145 dst_sel:DWORD dst_unused:UNUSED_PAD src0_sel:DWORD src1_sel:WORD_0
	v_sub_nc_u16 v154, v101, v107
	v_lshlrev_b32_sdwa v12, v98, v150 dst_sel:DWORD dst_unused:UNUSED_PAD src0_sel:DWORD src1_sel:WORD_0
	s_clause 0x3
	global_load_dwordx2 v[96:97], v13, s[12:13] offset:192
	global_load_dwordx2 v[90:91], v91, s[12:13] offset:192
	;; [unrolled: 1-line block ×4, first 2 shown]
	v_lshlrev_b32_sdwa v13, v98, v151 dst_sel:DWORD dst_unused:UNUSED_PAD src0_sel:DWORD src1_sel:WORD_0
	v_lshlrev_b32_sdwa v99, v98, v152 dst_sel:DWORD dst_unused:UNUSED_PAD src0_sel:DWORD src1_sel:WORD_0
	;; [unrolled: 1-line block ×4, first 2 shown]
	s_clause 0x4
	global_load_dwordx2 v[106:107], v12, s[12:13] offset:192
	global_load_dwordx2 v[104:105], v13, s[12:13] offset:192
	;; [unrolled: 1-line block ×5, first 2 shown]
	v_add_nc_u16 v12, v108, 0x3b8
	v_cmp_lt_u32_e64 s1, 27, v108
	v_lshlrev_b32_e32 v121, 2, v121
	v_mov_b32_e32 v156, 0xe0
	v_mov_b32_e32 v157, 2
	v_lshrrev_b16 v13, 2, v12
	v_mul_u32_u24_e32 v139, 0xe0, v139
	v_mul_u32_u24_e32 v159, 0xe0, v138
	v_mul_u32_u24_sdwa v158, v125, v156 dst_sel:DWORD dst_unused:UNUSED_PAD src0_sel:WORD_0 src1_sel:DWORD
	v_lshlrev_b32_sdwa v125, v157, v135 dst_sel:DWORD dst_unused:UNUSED_PAD src0_sel:DWORD src1_sel:WORD_0
	v_mul_u32_u24_sdwa v13, v13, v123 dst_sel:DWORD dst_unused:UNUSED_PAD src0_sel:WORD_0 src1_sel:DWORD
	v_cndmask_b32_e64 v123, 0, 0xe0, s1
	v_lshlrev_b32_sdwa v129, v157, v129 dst_sel:DWORD dst_unused:UNUSED_PAD src0_sel:DWORD src1_sel:BYTE_0
	v_mul_u32_u24_e32 v140, 0xe0, v140
	v_mul_u32_u24_e32 v146, 0xe0, v146
	v_lshrrev_b32_e32 v13, 17, v13
	v_add3_u32 v121, 0, v123, v121
	v_mul_u32_u24_e32 v123, 0xe0, v126
	v_mul_u32_u24_e32 v126, 0xe0, v130
	v_mul_u32_u24_e32 v130, 0xe0, v131
	v_mul_lo_u16 v13, v13, 28
	v_mul_u32_u24_e32 v131, 0xe0, v132
	v_mul_u32_u24_e32 v132, 0xe0, v137
	v_mul_u32_u24_sdwa v137, v124, v156 dst_sel:DWORD dst_unused:UNUSED_PAD src0_sel:WORD_0 src1_sel:DWORD
	v_mul_u32_u24_sdwa v156, v122, v156 dst_sel:DWORD dst_unused:UNUSED_PAD src0_sel:WORD_0 src1_sel:DWORD
	v_sub_nc_u16 v12, v12, v13
	v_lshlrev_b32_sdwa v122, v157, v133 dst_sel:DWORD dst_unused:UNUSED_PAD src0_sel:DWORD src1_sel:WORD_0
	v_lshlrev_b32_sdwa v124, v157, v134 dst_sel:DWORD dst_unused:UNUSED_PAD src0_sel:DWORD src1_sel:WORD_0
	;; [unrolled: 1-line block ×3, first 2 shown]
	v_add3_u32 v138, 0, v156, v129
	v_and_b32_e32 v155, 0xffff, v12
	v_add3_u32 v122, 0, v123, v122
	v_add3_u32 v123, 0, v126, v124
	;; [unrolled: 1-line block ×4, first 2 shown]
	v_lshlrev_b32_e32 v12, 3, v155
	v_lshlrev_b32_sdwa v131, v157, v144 dst_sel:DWORD dst_unused:UNUSED_PAD src0_sel:DWORD src1_sel:WORD_0
	v_lshlrev_b32_sdwa v134, v157, v141 dst_sel:DWORD dst_unused:UNUSED_PAD src0_sel:DWORD src1_sel:WORD_0
	v_lshlrev_b32_sdwa v127, v157, v127 dst_sel:DWORD dst_unused:UNUSED_PAD src0_sel:DWORD src1_sel:BYTE_0
	v_lshlrev_b32_sdwa v128, v157, v128 dst_sel:DWORD dst_unused:UNUSED_PAD src0_sel:DWORD src1_sel:BYTE_0
	global_load_dwordx2 v[12:13], v12, s[12:13] offset:192
	v_add3_u32 v129, 0, v139, v131
	v_add3_u32 v126, 0, v132, v134
	v_lshlrev_b32_sdwa v130, v157, v142 dst_sel:DWORD dst_unused:UNUSED_PAD src0_sel:DWORD src1_sel:WORD_0
	v_lshlrev_b32_sdwa v132, v157, v145 dst_sel:DWORD dst_unused:UNUSED_PAD src0_sel:DWORD src1_sel:WORD_0
	;; [unrolled: 1-line block ×3, first 2 shown]
	v_mul_u32_u24_e32 v143, 0xe0, v143
	v_mul_u32_u24_e32 v147, 0xe0, v147
	v_lshlrev_b32_sdwa v133, v157, v150 dst_sel:DWORD dst_unused:UNUSED_PAD src0_sel:DWORD src1_sel:WORD_0
	v_lshlrev_b32_sdwa v135, v157, v152 dst_sel:DWORD dst_unused:UNUSED_PAD src0_sel:DWORD src1_sel:WORD_0
	v_mul_u32_u24_e32 v148, 0xe0, v148
	v_lshlrev_b32_sdwa v141, v157, v153 dst_sel:DWORD dst_unused:UNUSED_PAD src0_sel:DWORD src1_sel:WORD_0
	v_mul_u32_u24_e32 v149, 0xe0, v149
	v_lshlrev_b32_sdwa v142, v157, v154 dst_sel:DWORD dst_unused:UNUSED_PAD src0_sel:DWORD src1_sel:WORD_0
	v_add3_u32 v136, 0, v137, v127
	v_add3_u32 v137, 0, v158, v128
	;; [unrolled: 1-line block ×9, first 2 shown]
	v_lshl_add_u32 v127, v155, 2, 0
	s_waitcnt vmcnt(0) lgkmcnt(0)
	s_barrier
	buffer_gl0_inv
	v_mul_f32_e32 v139, v70, v77
	v_mul_f32_e32 v145, v71, v79
	;; [unrolled: 1-line block ×4, first 2 shown]
	v_fma_f32 v139, v25, v76, -v139
	v_fma_f32 v145, v26, v78, -v145
	;; [unrolled: 1-line block ×4, first 2 shown]
	v_mul_f32_e32 v140, v66, v83
	v_sub_f32_e32 v139, v46, v139
	v_mul_f32_e32 v141, v67, v85
	v_mul_f32_e32 v142, v68, v87
	;; [unrolled: 1-line block ×3, first 2 shown]
	v_fma_f32 v140, v10, v82, -v140
	v_fma_f32 v46, v46, 2.0, -v139
	v_fma_f32 v141, v11, v84, -v141
	v_fma_f32 v142, v8, v86, -v142
	;; [unrolled: 1-line block ×3, first 2 shown]
	v_sub_f32_e32 v140, v36, v140
	ds_write2_b32 v121, v46, v139 offset1:28
	v_sub_f32_e32 v46, v47, v145
	v_sub_f32_e32 v139, v44, v146
	;; [unrolled: 1-line block ×6, first 2 shown]
	v_fma_f32 v47, v47, 2.0, -v46
	v_fma_f32 v44, v44, 2.0, -v139
	;; [unrolled: 1-line block ×7, first 2 shown]
	v_mul_f32_e32 v144, v60, v97
	v_mul_f32_e32 v148, v61, v91
	;; [unrolled: 1-line block ×9, first 2 shown]
	v_fma_f32 v144, v6, v96, -v144
	v_fma_f32 v148, v7, v90, -v148
	;; [unrolled: 1-line block ×9, first 2 shown]
	v_sub_f32_e32 v144, v27, v144
	v_sub_f32_e32 v146, v42, v148
	;; [unrolled: 1-line block ×9, first 2 shown]
	v_fma_f32 v27, v27, 2.0, -v144
	v_fma_f32 v42, v42, 2.0, -v146
	v_fma_f32 v43, v43, 2.0, -v147
	v_fma_f32 v32, v32, 2.0, -v148
	v_fma_f32 v33, v33, 2.0, -v149
	v_fma_f32 v40, v40, 2.0, -v150
	v_fma_f32 v41, v41, 2.0, -v151
	v_fma_f32 v34, v34, 2.0, -v152
	v_fma_f32 v35, v35, 2.0, -v153
	ds_write2_b32 v136, v47, v46 offset1:28
	ds_write2_b32 v137, v44, v139 offset1:28
	;; [unrolled: 1-line block ×16, first 2 shown]
	s_and_saveexec_b32 s1, s0
	s_cbranch_execz .LBB0_25
; %bb.24:
	v_mul_f32_e32 v27, v16, v13
	v_add_nc_u32_e32 v33, 0x1c00, v127
	v_fma_f32 v27, v14, v12, -v27
	v_sub_f32_e32 v27, v117, v27
	v_fma_f32 v32, v117, 2.0, -v27
	ds_write2_b32 v33, v32, v27 offset0:112 offset1:140
.LBB0_25:
	s_or_b32 exec_lo, exec_lo, s1
	v_mul_f32_e32 v25, v25, v77
	v_mul_f32_e32 v26, v26, v79
	;; [unrolled: 1-line block ×10, first 2 shown]
	v_fmac_f32_e32 v25, v70, v76
	v_fmac_f32_e32 v26, v71, v78
	;; [unrolled: 1-line block ×4, first 2 shown]
	v_mul_f32_e32 v9, v9, v89
	v_fmac_f32_e32 v10, v66, v82
	v_fmac_f32_e32 v11, v67, v84
	v_fmac_f32_e32 v7, v61, v90
	v_fmac_f32_e32 v4, v62, v92
	v_fmac_f32_e32 v3, v59, v100
	v_fmac_f32_e32 v15, v120, v102
	v_mul_f32_e32 v5, v5, v95
	v_mul_f32_e32 v6, v6, v97
	;; [unrolled: 1-line block ×3, first 2 shown]
	v_fmac_f32_e32 v9, v69, v88
	v_mul_f32_e32 v0, v0, v107
	v_mul_f32_e32 v2, v2, v99
	v_sub_f32_e32 v25, v54, v25
	v_sub_f32_e32 v26, v55, v26
	;; [unrolled: 1-line block ×10, first 2 shown]
	v_add_nc_u32_e32 v88, 0x800, v109
	v_add_nc_u32_e32 v92, 0xc00, v109
	v_fmac_f32_e32 v5, v63, v94
	v_add_nc_u32_e32 v89, 0x200, v109
	v_add_nc_u32_e32 v94, 0x1000, v109
	v_add_nc_u32_e32 v97, 0x1200, v109
	v_add_nc_u32_e32 v91, 0x1400, v109
	v_add_nc_u32_e32 v95, 0x1c00, v109
	v_add_nc_u32_e32 v93, 0x1800, v109
	v_add_nc_u32_e32 v90, 0x400, v109
	v_fmac_f32_e32 v6, v60, v96
	v_add_nc_u32_e32 v96, 0xe00, v109
	v_fmac_f32_e32 v8, v68, v86
	v_fmac_f32_e32 v0, v64, v106
	;; [unrolled: 1-line block ×3, first 2 shown]
	v_fma_f32 v27, v54, 2.0, -v25
	v_fma_f32 v54, v55, 2.0, -v26
	;; [unrolled: 1-line block ×10, first 2 shown]
	s_waitcnt lgkmcnt(0)
	s_barrier
	buffer_gl0_inv
	ds_read2_b32 v[62:63], v109 offset1:56
	ds_read2_b32 v[32:33], v89 offset0:96 offset1:152
	ds_read2_b32 v[84:85], v88 offset0:48 offset1:104
	;; [unrolled: 1-line block ×12, first 2 shown]
	ds_read2_b32 v[36:37], v95 offset1:56
	ds_read2_b32 v[52:53], v90 offset0:192 offset1:248
	ds_read2_b32 v[50:51], v96 offset0:112 offset1:168
	;; [unrolled: 1-line block ×3, first 2 shown]
	ds_read_b32 v101, v109 offset:7616
	v_mul_f32_e32 v1, v1, v105
	v_sub_f32_e32 v8, v17, v8
	v_sub_f32_e32 v9, v18, v9
	;; [unrolled: 1-line block ×4, first 2 shown]
	v_fmac_f32_e32 v1, v65, v104
	v_sub_f32_e32 v0, v20, v0
	v_sub_f32_e32 v2, v22, v2
	v_fma_f32 v17, v17, 2.0, -v8
	v_fma_f32 v18, v18, 2.0, -v9
	v_sub_f32_e32 v1, v21, v1
	v_fma_f32 v65, v119, 2.0, -v6
	v_fma_f32 v19, v19, 2.0, -v5
	;; [unrolled: 1-line block ×5, first 2 shown]
	s_waitcnt lgkmcnt(0)
	s_barrier
	buffer_gl0_inv
	ds_write2_b32 v121, v27, v25 offset1:28
	ds_write2_b32 v136, v54, v26 offset1:28
	;; [unrolled: 1-line block ×17, first 2 shown]
	s_and_saveexec_b32 s1, s0
	s_cbranch_execz .LBB0_27
; %bb.26:
	v_mul_f32_e32 v0, v14, v13
	v_add_nc_u32_e32 v2, 0x1c00, v127
	v_fmac_f32_e32 v0, v16, v12
	v_sub_f32_e32 v0, v118, v0
	v_fma_f32 v1, v118, 2.0, -v0
	ds_write2_b32 v2, v1, v0 offset0:112 offset1:140
.LBB0_27:
	s_or_b32 exec_lo, exec_lo, s1
	v_mul_u32_u24_e32 v0, 6, v108
	s_waitcnt lgkmcnt(0)
	s_barrier
	buffer_gl0_inv
	v_mov_b32_e32 v1, 0x2493
	v_lshlrev_b32_e32 v0, 3, v0
	v_lshrrev_b16 v2, 3, v112
	s_clause 0x2
	global_load_dwordx4 v[102:105], v0, s[12:13] offset:416
	global_load_dwordx4 v[117:120], v0, s[12:13] offset:432
	;; [unrolled: 1-line block ×3, first 2 shown]
	v_lshrrev_b16 v0, 3, v113
	v_and_b32_e32 v2, 31, v2
	v_mul_u32_u24_sdwa v0, v0, v1 dst_sel:DWORD dst_unused:UNUSED_PAD src0_sel:WORD_0 src1_sel:DWORD
	v_mul_lo_u16 v2, v2, 37
	v_lshrrev_b32_e32 v0, 16, v0
	v_mul_lo_u16 v0, v0, 56
	v_sub_nc_u16 v0, v113, v0
	v_and_b32_e32 v98, 0xffff, v0
	v_lshrrev_b16 v0, 3, v111
	v_mul_u32_u24_e32 v1, 6, v98
	v_and_b32_e32 v0, 31, v0
	v_lshlrev_b32_e32 v1, 3, v1
	v_mul_lo_u16 v0, v0, 37
	s_clause 0x1
	global_load_dwordx4 v[125:128], v1, s[12:13] offset:432
	global_load_dwordx4 v[24:27], v1, s[12:13] offset:416
	v_lshrrev_b16 v0, 8, v0
	global_load_dwordx4 v[129:132], v1, s[12:13] offset:448
	v_mul_lo_u16 v0, v0, 56
	v_sub_nc_u16 v0, v111, v0
	v_and_b32_e32 v99, 0xff, v0
	v_lshrrev_b16 v0, 8, v2
	v_mul_u32_u24_e32 v2, 6, v99
	v_mul_lo_u16 v0, v0, 56
	v_lshlrev_b32_e32 v1, 3, v2
	v_sub_nc_u16 v0, v112, v0
	s_clause 0x1
	global_load_dwordx4 v[20:23], v1, s[12:13] offset:416
	global_load_dwordx4 v[16:19], v1, s[12:13] offset:432
	v_and_b32_e32 v100, 0xff, v0
	global_load_dwordx4 v[12:15], v1, s[12:13] offset:448
	v_mul_u32_u24_e32 v0, 6, v100
	v_lshlrev_b32_e32 v0, 3, v0
	s_clause 0x2
	global_load_dwordx4 v[8:11], v0, s[12:13] offset:416
	global_load_dwordx4 v[4:7], v0, s[12:13] offset:432
	;; [unrolled: 1-line block ×3, first 2 shown]
	ds_read2_b32 v[54:55], v89 offset0:96 offset1:152
	ds_read2_b32 v[106:107], v88 offset0:48 offset1:104
	;; [unrolled: 1-line block ×3, first 2 shown]
	ds_read2_b32 v[135:136], v109 offset1:56
	ds_read2_b32 v[137:138], v94 offset0:96 offset1:152
	ds_read2_b32 v[139:140], v91 offset0:64 offset1:120
	;; [unrolled: 1-line block ×9, first 2 shown]
	ds_read2_b32 v[64:65], v95 offset1:56
	ds_read2_b32 v[76:77], v90 offset0:192 offset1:248
	ds_read2_b32 v[72:73], v96 offset0:112 offset1:168
	;; [unrolled: 1-line block ×3, first 2 shown]
	ds_read_b32 v143, v109 offset:7616
	s_waitcnt vmcnt(0) lgkmcnt(0)
	s_barrier
	buffer_gl0_inv
	v_mul_f32_e32 v144, v55, v103
	v_mul_f32_e32 v145, v33, v103
	;; [unrolled: 1-line block ×24, first 2 shown]
	v_fma_f32 v84, v84, v104, -v146
	v_fma_f32 v85, v85, v104, -v152
	v_fmac_f32_e32 v147, v106, v104
	v_fmac_f32_e32 v105, v107, v104
	v_fma_f32 v33, v33, v102, -v144
	v_fmac_f32_e32 v145, v55, v102
	v_fma_f32 v48, v48, v102, -v156
	v_fmac_f32_e32 v103, v80, v102
	v_fma_f32 v55, v86, v119, -v150
	v_fma_f32 v80, v87, v119, -v158
	v_fmac_f32_e32 v151, v137, v119
	v_fma_f32 v57, v57, v117, -v148
	v_fmac_f32_e32 v149, v134, v117
	v_fma_f32 v59, v59, v121, -v153
	v_fmac_f32_e32 v154, v140, v121
	v_fma_f32 v82, v82, v123, -v155
	v_fmac_f32_e32 v157, v141, v123
	v_fma_f32 v42, v42, v117, -v159
	v_fma_f32 v38, v38, v121, -v160
	v_fmac_f32_e32 v122, v74, v121
	v_fma_f32 v74, v83, v123, -v161
	v_fmac_f32_e32 v124, v142, v123
	v_fmac_f32_e32 v120, v138, v119
	;; [unrolled: 1-line block ×3, first 2 shown]
	v_add_f32_e32 v78, v33, v82
	v_add_f32_e32 v83, v145, v157
	v_sub_f32_e32 v33, v33, v82
	v_sub_f32_e32 v82, v145, v157
	v_add_f32_e32 v86, v84, v59
	v_add_f32_e32 v87, v147, v154
	v_sub_f32_e32 v59, v84, v59
	v_sub_f32_e32 v84, v147, v154
	;; [unrolled: 4-line block ×5, first 2 shown]
	v_add_f32_e32 v105, v42, v80
	v_sub_f32_e32 v42, v80, v42
	v_add_f32_e32 v119, v118, v120
	v_sub_f32_e32 v80, v120, v118
	v_add_f32_e32 v118, v86, v78
	v_add_f32_e32 v120, v87, v83
	v_sub_f32_e32 v121, v86, v78
	v_sub_f32_e32 v122, v87, v83
	v_sub_f32_e32 v78, v78, v102
	v_sub_f32_e32 v83, v83, v104
	v_sub_f32_e32 v87, v104, v87
	v_add_f32_e32 v123, v55, v59
	v_add_f32_e32 v124, v57, v84
	v_sub_f32_e32 v134, v55, v59
	v_sub_f32_e32 v137, v57, v84
	v_sub_f32_e32 v59, v59, v33
	v_sub_f32_e32 v84, v84, v82
	v_add_f32_e32 v140, v117, v107
	v_add_f32_e32 v144, v42, v38
	v_sub_f32_e32 v146, v42, v38
	v_sub_f32_e32 v38, v38, v48
	;; [unrolled: 1-line block ×5, first 2 shown]
	v_add_f32_e32 v138, v103, v106
	v_sub_f32_e32 v141, v103, v106
	v_sub_f32_e32 v142, v117, v107
	;; [unrolled: 1-line block ×6, first 2 shown]
	v_add_f32_e32 v145, v80, v85
	v_sub_f32_e32 v147, v80, v85
	v_sub_f32_e32 v42, v48, v42
	;; [unrolled: 1-line block ×3, first 2 shown]
	v_add_f32_e32 v102, v102, v118
	v_add_f32_e32 v104, v104, v120
	v_add_f32_e32 v118, v123, v33
	v_add_f32_e32 v82, v124, v82
	v_mul_f32_e32 v33, 0x3f4a47b2, v78
	v_mul_f32_e32 v78, 0x3f4a47b2, v83
	v_add_f32_e32 v119, v119, v140
	v_mul_f32_e32 v120, 0x3d64c772, v87
	v_mul_f32_e32 v123, 0xbf08b237, v134
	;; [unrolled: 1-line block ×3, first 2 shown]
	v_add_f32_e32 v48, v144, v48
	v_mul_f32_e32 v134, 0x3f5ff5aa, v59
	v_mul_f32_e32 v137, 0x3f5ff5aa, v84
	v_mul_f32_e32 v144, 0xbf08b237, v146
	v_mul_f32_e32 v146, 0x3f5ff5aa, v38
	v_sub_f32_e32 v80, v74, v80
	v_add_f32_e32 v83, v105, v138
	v_mul_f32_e32 v105, 0x3d64c772, v86
	v_add_f32_e32 v74, v145, v74
	v_mul_f32_e32 v106, 0x3f4a47b2, v106
	v_mul_f32_e32 v107, 0x3f4a47b2, v107
	;; [unrolled: 1-line block ×6, first 2 shown]
	v_fmamk_f32 v87, v87, 0x3d64c772, v78
	v_fma_f32 v120, 0x3f3bfb3b, v122, -v120
	v_fma_f32 v78, 0xbf3bfb3b, v122, -v78
	;; [unrolled: 1-line block ×3, first 2 shown]
	v_fmamk_f32 v123, v55, 0x3eae86e6, v123
	v_fma_f32 v55, 0xbeae86e6, v55, -v134
	v_fma_f32 v84, 0x3f5ff5aa, v84, -v124
	v_fmamk_f32 v124, v57, 0x3eae86e6, v124
	v_fma_f32 v134, 0xbeae86e6, v57, -v137
	v_add_f32_e32 v57, v136, v119
	v_fmamk_f32 v136, v42, 0x3eae86e6, v144
	v_fma_f32 v38, 0x3f5ff5aa, v38, -v144
	v_fma_f32 v42, 0xbeae86e6, v42, -v146
	v_fmamk_f32 v86, v86, 0x3d64c772, v33
	v_fma_f32 v105, 0x3f3bfb3b, v121, -v105
	v_fma_f32 v121, 0xbf3bfb3b, v121, -v33
	v_add_f32_e32 v33, v63, v83
	v_add_f32_e32 v59, v135, v104
	v_fmamk_f32 v63, v103, 0x3d64c772, v106
	v_fmamk_f32 v103, v117, 0x3d64c772, v107
	v_fma_f32 v117, 0x3f3bfb3b, v141, -v138
	v_fma_f32 v135, 0x3f3bfb3b, v142, -v140
	v_fmamk_f32 v137, v80, 0x3eae86e6, v145
	v_fma_f32 v85, 0x3f5ff5aa, v85, -v145
	v_fma_f32 v80, 0xbeae86e6, v80, -v147
	v_mul_f32_e32 v138, v73, v126
	v_mul_f32_e32 v126, v51, v126
	;; [unrolled: 1-line block ×4, first 2 shown]
	v_fmac_f32_e32 v123, 0x3ee1c552, v118
	v_fmac_f32_e32 v122, 0x3ee1c552, v118
	v_fmac_f32_e32 v55, 0x3ee1c552, v118
	v_mul_f32_e32 v118, v69, v130
	v_fmac_f32_e32 v124, 0x3ee1c552, v82
	v_fmac_f32_e32 v84, 0x3ee1c552, v82
	v_fmac_f32_e32 v134, 0x3ee1c552, v82
	v_mul_f32_e32 v82, v45, v130
	v_fmac_f32_e32 v136, 0x3ee1c552, v48
	v_fmac_f32_e32 v38, 0x3ee1c552, v48
	v_fmac_f32_e32 v42, 0x3ee1c552, v48
	v_mul_f32_e32 v48, v143, v132
	v_fmac_f32_e32 v137, 0x3ee1c552, v74
	v_fmac_f32_e32 v85, 0x3ee1c552, v74
	v_fmac_f32_e32 v80, 0x3ee1c552, v74
	v_mul_f32_e32 v74, v101, v132
	v_mul_f32_e32 v130, v77, v25
	v_mul_f32_e32 v25, v53, v25
	;; [unrolled: 1-line block ×4, first 2 shown]
	v_fma_f32 v58, v58, v127, -v140
	v_fmac_f32_e32 v128, v139, v127
	v_fma_f32 v51, v51, v125, -v138
	v_fmac_f32_e32 v126, v73, v125
	v_mul_f32_e32 v73, v81, v21
	v_mul_f32_e32 v21, v49, v21
	;; [unrolled: 1-line block ×4, first 2 shown]
	v_fma_f32 v48, v101, v131, -v48
	v_mul_f32_e32 v101, v79, v17
	v_mul_f32_e32 v17, v43, v17
	v_fma_f32 v45, v45, v129, -v118
	v_fmac_f32_e32 v82, v69, v129
	v_mul_f32_e32 v69, v66, v19
	v_mul_f32_e32 v19, v40, v19
	;; [unrolled: 1-line block ×6, first 2 shown]
	v_add_f32_e32 v62, v62, v102
	v_fma_f32 v56, v56, v26, -v132
	v_fmac_f32_e32 v27, v133, v26
	v_mul_f32_e32 v26, v76, v9
	v_mul_f32_e32 v9, v52, v9
	v_fma_f32 v53, v53, v24, -v130
	v_fmac_f32_e32 v25, v77, v24
	v_mul_f32_e32 v24, v71, v11
	v_fma_f32 v49, v49, v20, -v73
	v_fmac_f32_e32 v21, v81, v20
	v_fma_f32 v20, v46, v22, -v125
	v_fmac_f32_e32 v23, v70, v22
	;; [unrolled: 2-line block ×6, first 2 shown]
	v_fma_f32 v106, 0xbf3bfb3b, v141, -v106
	v_fmamk_f32 v102, v102, 0xbf955555, v62
	v_fmamk_f32 v104, v104, 0xbf955555, v59
	;; [unrolled: 1-line block ×3, first 2 shown]
	v_mul_f32_e32 v11, v47, v11
	v_fma_f32 v14, v52, v8, -v26
	v_fmac_f32_e32 v9, v76, v8
	v_fma_f32 v8, v47, v10, -v24
	v_add_f32_e32 v46, v49, v12
	v_add_f32_e32 v47, v21, v15
	v_sub_f32_e32 v12, v49, v12
	v_sub_f32_e32 v15, v21, v15
	v_add_f32_e32 v21, v20, v18
	v_add_f32_e32 v49, v23, v13
	v_mul_f32_e32 v77, v72, v5
	v_add_f32_e32 v86, v86, v102
	v_add_f32_e32 v105, v105, v102
	v_add_f32_e32 v102, v121, v102
	v_mul_f32_e32 v121, v68, v1
	v_add_f32_e32 v87, v87, v104
	;; [unrolled: 4-line block ×3, first 2 shown]
	v_add_f32_e32 v104, v117, v83
	v_add_f32_e32 v83, v106, v83
	v_mul_f32_e32 v106, v65, v3
	v_mul_f32_e32 v3, v37, v3
	v_sub_f32_e32 v18, v20, v18
	v_sub_f32_e32 v13, v23, v13
	v_add_f32_e32 v20, v22, v16
	v_add_f32_e32 v23, v17, v19
	v_sub_f32_e32 v16, v16, v22
	v_sub_f32_e32 v17, v19, v17
	v_add_f32_e32 v19, v21, v46
	v_add_f32_e32 v22, v49, v47
	v_mul_f32_e32 v5, v50, v5
	v_fmac_f32_e32 v11, v71, v10
	v_fma_f32 v10, v50, v4, -v77
	v_fmac_f32_e32 v1, v68, v0
	v_fmac_f32_e32 v3, v65, v2
	v_sub_f32_e32 v65, v78, v55
	v_add_f32_e32 v68, v55, v78
	v_sub_f32_e32 v50, v21, v46
	v_sub_f32_e32 v52, v49, v47
	;; [unrolled: 1-line block ×6, first 2 shown]
	v_add_f32_e32 v55, v16, v18
	v_add_f32_e32 v76, v17, v13
	v_sub_f32_e32 v77, v16, v18
	v_sub_f32_e32 v78, v17, v13
	;; [unrolled: 1-line block ×4, first 2 shown]
	v_add_f32_e32 v19, v20, v19
	v_add_f32_e32 v20, v23, v22
	v_sub_f32_e32 v16, v12, v16
	v_sub_f32_e32 v17, v15, v17
	v_add_f32_e32 v12, v55, v12
	v_add_f32_e32 v15, v76, v15
	v_mul_f32_e32 v22, 0x3f4a47b2, v46
	v_mul_f32_e32 v23, 0x3f4a47b2, v47
	;; [unrolled: 1-line block ×8, first 2 shown]
	v_add_f32_e32 v34, v34, v19
	v_add_f32_e32 v60, v60, v20
	v_mul_f32_e32 v129, v67, v7
	v_mul_f32_e32 v7, v41, v7
	v_fmamk_f32 v21, v21, 0x3d64c772, v22
	v_fmamk_f32 v49, v49, 0x3d64c772, v23
	v_fma_f32 v46, 0x3f3bfb3b, v50, -v46
	v_fma_f32 v47, 0x3f3bfb3b, v52, -v47
	v_fma_f32 v22, 0xbf3bfb3b, v50, -v22
	v_fma_f32 v23, 0xbf3bfb3b, v52, -v23
	v_fmamk_f32 v50, v16, 0x3eae86e6, v55
	v_fmamk_f32 v52, v17, 0x3eae86e6, v76
	;; [unrolled: 1-line block ×4, first 2 shown]
	v_fma_f32 v16, 0xbeae86e6, v16, -v77
	v_fma_f32 v17, 0xbeae86e6, v17, -v78
	v_fmac_f32_e32 v5, v72, v4
	v_fma_f32 v4, v41, v6, -v129
	v_fmac_f32_e32 v7, v67, v6
	v_fma_f32 v6, v44, v0, -v121
	v_fma_f32 v0, v37, v2, -v106
	v_add_f32_e32 v21, v21, v19
	v_add_f32_e32 v49, v49, v20
	;; [unrolled: 1-line block ×6, first 2 shown]
	v_fmac_f32_e32 v17, 0x3ee1c552, v15
	v_fmac_f32_e32 v16, 0x3ee1c552, v12
	v_fma_f32 v18, 0x3f5ff5aa, v18, -v55
	v_fma_f32 v13, 0x3f5ff5aa, v13, -v76
	v_fmac_f32_e32 v50, 0x3ee1c552, v12
	v_add_f32_e32 v22, v17, v19
	v_sub_f32_e32 v76, v20, v16
	v_sub_f32_e32 v17, v19, v17
	v_add_f32_e32 v16, v16, v20
	v_add_f32_e32 v19, v14, v0
	v_add_f32_e32 v20, v9, v3
	v_sub_f32_e32 v3, v9, v3
	v_add_f32_e32 v9, v8, v6
	v_sub_f32_e32 v0, v14, v0
	v_add_f32_e32 v14, v11, v1
	v_fmac_f32_e32 v52, 0x3ee1c552, v15
	v_fmac_f32_e32 v18, 0x3ee1c552, v12
	;; [unrolled: 1-line block ×3, first 2 shown]
	v_sub_f32_e32 v6, v8, v6
	v_sub_f32_e32 v1, v11, v1
	v_add_f32_e32 v8, v10, v4
	v_add_f32_e32 v11, v5, v7
	v_sub_f32_e32 v4, v4, v10
	v_sub_f32_e32 v5, v7, v5
	v_add_f32_e32 v7, v9, v19
	v_add_f32_e32 v10, v14, v20
	;; [unrolled: 1-line block ×3, first 2 shown]
	v_sub_f32_e32 v15, v49, v50
	v_sub_f32_e32 v23, v46, v13
	v_add_f32_e32 v77, v18, v47
	v_add_f32_e32 v13, v13, v46
	v_sub_f32_e32 v78, v47, v18
	v_sub_f32_e32 v18, v21, v52
	v_add_f32_e32 v79, v50, v49
	v_sub_f32_e32 v21, v9, v19
	v_sub_f32_e32 v46, v14, v20
	;; [unrolled: 1-line block ×6, first 2 shown]
	v_add_f32_e32 v47, v4, v6
	v_add_f32_e32 v49, v5, v1
	v_sub_f32_e32 v50, v4, v6
	v_sub_f32_e32 v52, v5, v1
	v_add_f32_e32 v7, v8, v7
	v_sub_f32_e32 v1, v1, v3
	v_sub_f32_e32 v6, v6, v0
	;; [unrolled: 3-line block ×3, first 2 shown]
	v_add_f32_e32 v0, v47, v0
	v_add_f32_e32 v3, v49, v3
	;; [unrolled: 1-line block ×3, first 2 shown]
	v_mul_f32_e32 v19, 0x3f4a47b2, v19
	v_mul_f32_e32 v20, 0x3f4a47b2, v20
	;; [unrolled: 1-line block ×7, first 2 shown]
	v_add_f32_e32 v11, v61, v8
	v_mul_f32_e32 v52, 0x3f5ff5aa, v6
	v_fmamk_f32 v7, v7, 0xbf955555, v10
	v_fmamk_f32 v9, v9, 0x3d64c772, v19
	;; [unrolled: 1-line block ×3, first 2 shown]
	v_fma_f32 v35, 0x3f3bfb3b, v21, -v35
	v_fma_f32 v47, 0x3f3bfb3b, v46, -v47
	;; [unrolled: 1-line block ×4, first 2 shown]
	v_fmamk_f32 v46, v5, 0x3eae86e6, v50
	v_fma_f32 v1, 0x3f5ff5aa, v1, -v50
	v_fma_f32 v5, 0xbeae86e6, v5, -v55
	v_fmamk_f32 v8, v8, 0xbf955555, v11
	v_fmamk_f32 v21, v4, 0x3eae86e6, v49
	v_fma_f32 v4, 0xbeae86e6, v4, -v52
	v_fmamk_f32 v119, v119, 0xbf955555, v57
	v_fma_f32 v6, 0x3f5ff5aa, v6, -v49
	v_add_f32_e32 v9, v9, v7
	v_add_f32_e32 v35, v35, v7
	v_add_f32_e32 v7, v19, v7
	v_fmac_f32_e32 v46, 0x3ee1c552, v3
	v_fmac_f32_e32 v5, 0x3ee1c552, v3
	;; [unrolled: 1-line block ×4, first 2 shown]
	v_add_f32_e32 v14, v14, v8
	v_add_f32_e32 v47, v47, v8
	;; [unrolled: 1-line block ×3, first 2 shown]
	v_fmac_f32_e32 v21, 0x3ee1c552, v0
	v_fmac_f32_e32 v4, 0x3ee1c552, v0
	v_add_f32_e32 v117, v135, v119
	v_fmac_f32_e32 v6, 0x3ee1c552, v0
	v_add_f32_e32 v0, v46, v9
	v_add_f32_e32 v19, v5, v7
	v_sub_f32_e32 v20, v35, v1
	v_add_f32_e32 v1, v1, v35
	v_sub_f32_e32 v5, v7, v5
	v_sub_f32_e32 v7, v9, v46
	v_add_f32_e32 v9, v53, v48
	v_add_f32_e32 v35, v56, v45
	v_sub_f32_e32 v3, v14, v21
	v_sub_f32_e32 v61, v8, v4
	v_add_f32_e32 v4, v4, v8
	v_add_f32_e32 v8, v21, v14
	v_add_f32_e32 v14, v25, v74
	v_add_f32_e32 v46, v27, v82
	v_add_f32_e32 v41, v80, v83
	v_add_f32_e32 v72, v38, v117
	v_sub_f32_e32 v73, v117, v38
	v_sub_f32_e32 v38, v83, v80
	v_add_f32_e32 v80, v6, v47
	v_sub_f32_e32 v6, v47, v6
	v_sub_f32_e32 v21, v53, v48
	;; [unrolled: 1-line block ×3, first 2 shown]
	v_add_f32_e32 v47, v51, v58
	v_add_f32_e32 v48, v126, v128
	v_sub_f32_e32 v49, v58, v51
	v_sub_f32_e32 v50, v128, v126
	v_add_f32_e32 v51, v35, v9
	v_sub_f32_e32 v25, v25, v74
	v_sub_f32_e32 v45, v56, v45
	v_add_f32_e32 v52, v46, v14
	v_fma_f32 v107, 0xbf3bfb3b, v142, -v107
	v_sub_f32_e32 v53, v35, v9
	v_sub_f32_e32 v55, v46, v14
	;; [unrolled: 1-line block ×6, first 2 shown]
	v_add_f32_e32 v58, v50, v27
	v_sub_f32_e32 v81, v50, v27
	v_add_f32_e32 v47, v47, v51
	v_add_f32_e32 v2, v124, v86
	v_sub_f32_e32 v27, v27, v25
	v_add_f32_e32 v24, v134, v102
	v_sub_f32_e32 v26, v105, v84
	v_add_f32_e32 v56, v49, v45
	v_sub_f32_e32 v74, v49, v45
	v_sub_f32_e32 v45, v45, v21
	v_add_f32_e32 v48, v48, v52
	v_add_f32_e32 v107, v107, v119
	v_sub_f32_e32 v50, v25, v50
	v_add_f32_e32 v25, v58, v25
	v_add_f32_e32 v32, v32, v47
	v_mul_f32_e32 v9, 0x3f4a47b2, v9
	v_mul_f32_e32 v14, 0x3f4a47b2, v14
	;; [unrolled: 1-line block ×6, first 2 shown]
	ds_write2_b32 v109, v62, v2 offset1:56
	ds_write2_b32 v109, v24, v26 offset0:112 offset1:168
	v_lshl_add_u32 v2, v99, 2, 0
	v_sub_f32_e32 v49, v21, v49
	v_add_f32_e32 v21, v56, v21
	v_add_f32_e32 v56, v54, v48
	v_mul_f32_e32 v54, 0xbf08b237, v74
	v_mul_f32_e32 v74, 0x3f5ff5aa, v45
	v_add_f32_e32 v36, v84, v105
	v_sub_f32_e32 v37, v102, v134
	v_sub_f32_e32 v71, v107, v42
	;; [unrolled: 1-line block ×3, first 2 shown]
	v_add_f32_e32 v75, v42, v107
	v_sub_f32_e32 v42, v63, v137
	v_fmamk_f32 v47, v47, 0xbf955555, v32
	v_fmamk_f32 v35, v35, 0x3d64c772, v9
	;; [unrolled: 1-line block ×3, first 2 shown]
	v_fma_f32 v52, 0x3f3bfb3b, v55, -v52
	v_fma_f32 v14, 0xbf3bfb3b, v55, -v14
	v_fmamk_f32 v55, v50, 0x3eae86e6, v58
	v_add_nc_u32_e32 v62, 0x600, v109
	v_sub_f32_e32 v39, v86, v124
	v_add_f32_e32 v44, v85, v104
	v_fma_f32 v51, 0x3f3bfb3b, v53, -v51
	v_fma_f32 v9, 0xbf3bfb3b, v53, -v9
	;; [unrolled: 1-line block ×4, first 2 shown]
	v_add_nc_u32_e32 v84, 0xc00, v2
	v_add_f32_e32 v40, v137, v63
	v_lshl_add_u32 v85, v100, 2, 0
	v_fmamk_f32 v48, v48, 0xbf955555, v56
	v_fmamk_f32 v53, v49, 0x3eae86e6, v54
	v_fma_f32 v45, 0x3f5ff5aa, v45, -v54
	v_fma_f32 v49, 0xbeae86e6, v49, -v74
	v_sub_f32_e32 v64, v87, v123
	v_add_f32_e32 v69, v123, v87
	v_add_f32_e32 v35, v35, v47
	v_fmac_f32_e32 v55, 0x3ee1c552, v25
	ds_write2_b32 v89, v36, v37 offset0:96 offset1:152
	ds_write2_b32 v90, v39, v33 offset0:80 offset1:136
	ds_write_b32 v116, v40
	ds_write2_b32 v62, v41, v43 offset0:120 offset1:176
	ds_write2_b32 v88, v44, v38 offset0:104 offset1:160
	ds_write_b32 v109, v42 offset:2912
	ds_write2_b32 v84, v34, v12 offset0:16 offset1:72
	v_add_nc_u32_e32 v12, 0xe00, v2
	v_lshl_add_u32 v87, v98, 2, 0
	v_add_f32_e32 v51, v51, v47
	v_add_f32_e32 v9, v9, v47
	v_fmac_f32_e32 v50, 0x3ee1c552, v25
	v_fmac_f32_e32 v27, 0x3ee1c552, v25
	v_add_nc_u32_e32 v86, 0x1000, v85
	v_add_f32_e32 v46, v46, v48
	v_add_f32_e32 v52, v52, v48
	;; [unrolled: 1-line block ×3, first 2 shown]
	v_fmac_f32_e32 v53, 0x3ee1c552, v21
	v_fmac_f32_e32 v45, 0x3ee1c552, v21
	;; [unrolled: 1-line block ×3, first 2 shown]
	v_add_nc_u32_e32 v98, 0x1400, v85
	v_add_f32_e32 v21, v55, v35
	ds_write2_b32 v84, v22, v23 offset0:128 offset1:184
	ds_write2_b32 v12, v13, v17 offset0:112 offset1:168
	ds_write_b32 v2, v18 offset:4480
	ds_write2_b32 v86, v10, v0 offset0:152 offset1:208
	v_add_nc_u32_e32 v0, 0x1800, v87
	v_add_f32_e32 v25, v50, v9
	v_sub_f32_e32 v47, v51, v27
	v_add_f32_e32 v27, v27, v51
	v_sub_f32_e32 v9, v9, v50
	v_sub_f32_e32 v35, v35, v55
	v_add_nc_u32_e32 v10, 0x1c00, v87
	v_sub_f32_e32 v58, v46, v53
	v_sub_f32_e32 v74, v14, v49
	v_add_f32_e32 v81, v45, v52
	v_sub_f32_e32 v82, v52, v45
	v_add_f32_e32 v14, v49, v14
	v_add_f32_e32 v83, v53, v46
	ds_write2_b32 v98, v19, v20 offset0:8 offset1:64
	ds_write2_b32 v98, v1, v5 offset0:120 offset1:176
	ds_write_b32 v85, v7 offset:6048
	ds_write2_b32 v0, v32, v21 offset0:32 offset1:88
	ds_write2_b32 v0, v25, v47 offset0:144 offset1:200
	ds_write2_b32 v10, v27, v9 offset1:56
	ds_write_b32 v87, v35 offset:7616
	s_waitcnt lgkmcnt(0)
	s_barrier
	buffer_gl0_inv
	ds_read2_b32 v[17:18], v109 offset1:56
	ds_read2_b32 v[23:24], v90 offset0:80 offset1:136
	ds_read2_b32 v[19:20], v92 offset0:16 offset1:72
	;; [unrolled: 1-line block ×13, first 2 shown]
	ds_read2_b32 v[48:49], v95 offset1:56
	ds_read2_b32 v[52:53], v88 offset0:160 offset1:216
	ds_read2_b32 v[54:55], v91 offset0:176 offset1:232
	ds_read_b32 v27, v109 offset:7616
	v_add_f32_e32 v103, v103, v119
	v_add_f32_e32 v66, v122, v120
	v_sub_f32_e32 v67, v120, v122
	s_waitcnt lgkmcnt(0)
	s_barrier
	v_sub_f32_e32 v70, v103, v136
	v_add_f32_e32 v63, v136, v103
	buffer_gl0_inv
	ds_write2_b32 v109, v59, v64 offset1:56
	ds_write2_b32 v109, v65, v66 offset0:112 offset1:168
	ds_write2_b32 v89, v67, v68 offset0:96 offset1:152
	ds_write2_b32 v90, v69, v57 offset0:80 offset1:136
	ds_write_b32 v116, v70
	ds_write2_b32 v62, v71, v72 offset0:120 offset1:176
	ds_write2_b32 v88, v73, v75 offset0:104 offset1:160
	ds_write_b32 v109, v63 offset:2912
	ds_write2_b32 v84, v60, v15 offset0:16 offset1:72
	ds_write2_b32 v84, v76, v77 offset0:128 offset1:184
	ds_write2_b32 v12, v78, v16 offset0:112 offset1:168
	ds_write_b32 v2, v79 offset:4480
	ds_write2_b32 v86, v11, v3 offset0:152 offset1:208
	;; [unrolled: 4-line block ×3, first 2 shown]
	ds_write2_b32 v0, v74, v81 offset0:144 offset1:200
	ds_write2_b32 v10, v82, v14 offset1:56
	ds_write_b32 v87, v83 offset:7616
	s_waitcnt lgkmcnt(0)
	s_barrier
	buffer_gl0_inv
	s_and_saveexec_b32 s0, vcc_lo
	s_cbranch_execz .LBB0_29
; %bb.28:
	v_lshlrev_b32_e32 v15, 2, v115
	v_mov_b32_e32 v16, 0
	v_lshlrev_b32_e32 v3, 2, v114
	v_lshlrev_b32_e32 v2, 2, v113
	;; [unrolled: 1-line block ×4, first 2 shown]
	v_lshlrev_b64 v[0:1], 3, v[15:16]
	v_mov_b32_e32 v4, v16
	v_add_nc_u32_e32 v69, 0x400, v109
	v_mov_b32_e32 v72, v16
	v_add_nc_u32_e32 v68, 0x800, v109
	v_add_nc_u32_e32 v74, 0xe00, v109
	v_add_co_u32 v6, vcc_lo, s12, v0
	v_add_co_ci_u32_e32 v7, vcc_lo, s13, v1, vcc_lo
	v_lshlrev_b64 v[0:1], 3, v[3:4]
	v_add_co_u32 v4, vcc_lo, 0xc20, v6
	v_add_co_ci_u32_e32 v5, vcc_lo, 0, v7, vcc_lo
	v_mov_b32_e32 v3, v16
	v_add_co_u32 v8, vcc_lo, s12, v0
	v_add_co_ci_u32_e32 v9, vcc_lo, s13, v1, vcc_lo
	v_add_co_u32 v0, vcc_lo, 0x800, v6
	v_add_co_ci_u32_e32 v1, vcc_lo, 0, v7, vcc_lo
	v_add_co_u32 v6, vcc_lo, 0x800, v8
	v_lshlrev_b64 v[59:60], 3, v[2:3]
	v_add_co_ci_u32_e32 v7, vcc_lo, 0, v9, vcc_lo
	v_add_co_u32 v57, vcc_lo, 0xc20, v8
	v_add_co_ci_u32_e32 v58, vcc_lo, 0, v9, vcc_lo
	s_clause 0x3
	global_load_dwordx4 v[8:11], v[0:1], off offset:1056
	global_load_dwordx4 v[12:15], v[4:5], off offset:16
	global_load_dwordx4 v[0:3], v[6:7], off offset:1056
	global_load_dwordx4 v[4:7], v[57:58], off offset:16
	v_add_co_u32 v61, vcc_lo, s12, v59
	v_mov_b32_e32 v57, v16
	v_add_co_ci_u32_e32 v62, vcc_lo, s13, v60, vcc_lo
	v_add_co_u32 v58, vcc_lo, 0xc20, v61
	v_lshlrev_b64 v[56:57], 3, v[56:57]
	v_add_co_ci_u32_e32 v59, vcc_lo, 0, v62, vcc_lo
	v_add_co_u32 v60, vcc_lo, 0x800, v61
	v_add_co_ci_u32_e32 v61, vcc_lo, 0, v62, vcc_lo
	v_add_co_u32 v62, vcc_lo, s12, v56
	v_add_co_ci_u32_e32 v67, vcc_lo, s13, v57, vcc_lo
	s_clause 0x1
	global_load_dwordx4 v[63:66], v[60:61], off offset:1056
	global_load_dwordx4 v[77:80], v[58:59], off offset:16
	v_add_co_u32 v56, vcc_lo, 0x800, v62
	v_add_co_ci_u32_e32 v57, vcc_lo, 0, v67, vcc_lo
	v_add_co_u32 v58, vcc_lo, 0xc20, v62
	v_add_co_ci_u32_e32 v59, vcc_lo, 0, v67, vcc_lo
	s_clause 0x1
	global_load_dwordx4 v[81:84], v[56:57], off offset:1056
	global_load_dwordx4 v[85:88], v[58:59], off offset:16
	v_add_nc_u32_e32 v56, 0x1000, v109
	v_add_nc_u32_e32 v89, 0x1c00, v109
	;; [unrolled: 1-line block ×4, first 2 shown]
	ds_read_b32 v107, v109 offset:7616
	ds_read2_b32 v[61:62], v109 offset0:112 offset1:168
	ds_read2_b32 v[105:106], v68 offset0:160 offset1:216
	;; [unrolled: 1-line block ×6, first 2 shown]
	ds_read2_b32 v[122:123], v89 offset1:56
	ds_read2_b32 v[124:125], v90 offset0:96 offset1:152
	v_lshlrev_b64 v[89:90], 3, v[71:72]
	v_add_nc_u32_e32 v75, 0xc00, v109
	ds_read2_b32 v[126:127], v68 offset0:48 offset1:104
	ds_read2_b32 v[128:129], v73 offset0:64 offset1:120
	;; [unrolled: 1-line block ×3, first 2 shown]
	v_lshlrev_b32_e32 v70, 2, v110
	v_add_co_u32 v72, vcc_lo, s12, v89
	v_add_co_ci_u32_e32 v91, vcc_lo, s13, v90, vcc_lo
	v_mov_b32_e32 v71, v16
	v_add_co_u32 v89, vcc_lo, 0x800, v72
	v_add_co_ci_u32_e32 v90, vcc_lo, 0, v91, vcc_lo
	v_add_co_u32 v93, vcc_lo, 0xc20, v72
	v_add_co_ci_u32_e32 v94, vcc_lo, 0, v91, vcc_lo
	global_load_dwordx4 v[89:92], v[89:90], off offset:1056
	v_lshlrev_b32_e32 v67, 2, v108
	v_mov_b32_e32 v68, v16
	global_load_dwordx4 v[93:96], v[93:94], off offset:16
	v_lshlrev_b64 v[70:71], 3, v[70:71]
	v_mul_lo_u32 v58, s3, v30
	v_mul_lo_u32 v97, s2, v31
	v_lshlrev_b64 v[67:68], 3, v[67:68]
	v_mad_u64_u32 v[30:31], null, s2, v30, 0
	v_add_co_u32 v70, vcc_lo, s12, v70
	v_add_co_ci_u32_e32 v71, vcc_lo, s13, v71, vcc_lo
	v_add_co_u32 v72, vcc_lo, s12, v67
	v_add_co_ci_u32_e32 v98, vcc_lo, s13, v68, vcc_lo
	;; [unrolled: 2-line block ×4, first 2 shown]
	v_add_co_u32 v110, vcc_lo, 0x800, v72
	v_add_nc_u32_e32 v76, 0x1800, v109
	v_add_co_ci_u32_e32 v111, vcc_lo, 0, v98, vcc_lo
	v_add_co_u32 v114, vcc_lo, 0xc20, v72
	v_add_co_ci_u32_e32 v115, vcc_lo, 0, v98, vcc_lo
	ds_read2_b32 v[130:131], v76 offset0:144 offset1:200
	v_add3_u32 v31, v31, v97, v58
	s_clause 0x3
	global_load_dwordx4 v[97:100], v[70:71], off offset:1056
	global_load_dwordx4 v[101:104], v[67:68], off offset:16
	;; [unrolled: 1-line block ×4, first 2 shown]
	v_lshlrev_b64 v[28:29], 3, v[28:29]
	v_lshlrev_b64 v[30:31], 3, v[30:31]
	v_add_co_u32 v30, vcc_lo, s10, v30
	v_add_co_ci_u32_e32 v31, vcc_lo, s11, v31, vcc_lo
	s_waitcnt vmcnt(13) lgkmcnt(10)
	v_mul_f32_e32 v58, v8, v106
	s_waitcnt lgkmcnt(9)
	v_mul_f32_e32 v67, v10, v56
	s_waitcnt vmcnt(12)
	v_mul_f32_e32 v68, v14, v107
	s_waitcnt lgkmcnt(8)
	v_mul_f32_e32 v70, v12, v119
	v_mul_f32_e32 v56, v11, v56
	;; [unrolled: 1-line block ×5, first 2 shown]
	v_fmac_f32_e32 v58, v53, v9
	v_fmac_f32_e32 v67, v21, v11
	;; [unrolled: 1-line block ×4, first 2 shown]
	v_fma_f32 v9, v21, v10, -v56
	v_fma_f32 v10, v55, v12, -v71
	;; [unrolled: 1-line block ×4, first 2 shown]
	s_waitcnt vmcnt(11)
	v_mul_f32_e32 v11, v0, v105
	s_waitcnt lgkmcnt(6)
	v_mul_f32_e32 v13, v2, v121
	s_waitcnt vmcnt(10) lgkmcnt(5)
	v_mul_f32_e32 v14, v6, v123
	v_mul_f32_e32 v15, v4, v118
	;; [unrolled: 1-line block ×6, first 2 shown]
	s_waitcnt vmcnt(9) lgkmcnt(3)
	v_mul_f32_e32 v56, v63, v127
	v_mul_f32_e32 v71, v65, v120
	s_waitcnt vmcnt(8)
	v_mul_f32_e32 v72, v79, v122
	s_waitcnt lgkmcnt(2)
	v_mul_f32_e32 v105, v77, v129
	v_mul_f32_e32 v106, v66, v120
	;; [unrolled: 1-line block ×5, first 2 shown]
	s_waitcnt vmcnt(7) lgkmcnt(1)
	v_mul_f32_e32 v120, v83, v74
	v_mul_f32_e32 v121, v81, v126
	s_waitcnt vmcnt(6)
	v_mul_f32_e32 v122, v85, v128
	v_mul_f32_e32 v126, v82, v126
	;; [unrolled: 1-line block ×4, first 2 shown]
	v_sub_f32_e32 v133, v8, v12
	v_add_f32_e32 v134, v67, v70
	v_sub_f32_e32 v135, v8, v9
	v_add_f32_e32 v137, v9, v10
	;; [unrolled: 2-line block ×3, first 2 shown]
	v_add_f32_e32 v8, v23, v8
	v_fmac_f32_e32 v11, v52, v1
	v_fmac_f32_e32 v13, v51, v3
	;; [unrolled: 1-line block ×4, first 2 shown]
	v_fma_f32 v21, v51, v2, -v21
	v_fma_f32 v27, v54, v4, -v27
	;; [unrolled: 1-line block ×4, first 2 shown]
	s_waitcnt lgkmcnt(0)
	v_mul_f32_e32 v123, v87, v131
	v_mul_f32_e32 v127, v88, v131
	v_sub_f32_e32 v129, v58, v67
	v_sub_f32_e32 v131, v68, v70
	;; [unrolled: 1-line block ×5, first 2 shown]
	v_add_f32_e32 v142, v58, v68
	v_add_f32_e32 v58, v58, v59
	v_fmac_f32_e32 v56, v47, v64
	v_fmac_f32_e32 v71, v50, v66
	;; [unrolled: 1-line block ×4, first 2 shown]
	v_fma_f32 v50, v50, v65, -v106
	v_fma_f32 v77, v45, v77, -v107
	;; [unrolled: 1-line block ×4, first 2 shown]
	v_fmac_f32_e32 v121, v46, v82
	v_fmac_f32_e32 v122, v44, v86
	v_fma_f32 v79, v46, v81, -v126
	v_fma_f32 v74, v41, v83, -v74
	;; [unrolled: 1-line block ×3, first 2 shown]
	v_fma_f32 v1, -0.5, v134, v59
	v_fma_f32 v0, -0.5, v137, v23
	v_add_f32_e32 v8, v8, v9
	v_add_f32_e32 v44, v13, v15
	;; [unrolled: 1-line block ×7, first 2 shown]
	v_sub_f32_e32 v132, v9, v10
	v_sub_f32_e32 v139, v67, v70
	;; [unrolled: 1-line block ×4, first 2 shown]
	v_fmac_f32_e32 v120, v41, v84
	v_fmac_f32_e32 v123, v39, v88
	v_fma_f32 v39, v39, v87, -v127
	v_add_f32_e32 v46, v129, v131
	v_add_f32_e32 v47, v135, v136
	v_fma_f32 v3, -0.5, v142, v59
	v_fma_f32 v2, -0.5, v145, v23
	v_add_f32_e32 v23, v67, v58
	v_sub_f32_e32 v9, v11, v13
	v_sub_f32_e32 v58, v21, v27
	;; [unrolled: 1-line block ×11, first 2 shown]
	v_add_f32_e32 v88, v71, v105
	v_sub_f32_e32 v106, v5, v50
	v_add_f32_e32 v118, v50, v77
	v_sub_f32_e32 v119, v56, v72
	v_sub_f32_e32 v127, v71, v56
	v_add_f32_e32 v129, v56, v72
	v_sub_f32_e32 v131, v50, v5
	v_add_f32_e32 v135, v5, v78
	v_add_f32_e32 v56, v56, v124
	;; [unrolled: 1-line block ×3, first 2 shown]
	v_fmamk_f32 v5, v133, 0x3f737871, v1
	v_fmamk_f32 v4, v138, 0xbf737871, v0
	v_add_f32_e32 v8, v8, v10
	v_fmac_f32_e32 v1, 0xbf737871, v133
	v_fmac_f32_e32 v0, 0x3f737871, v138
	v_fma_f32 v45, -0.5, v44, v125
	v_fma_f32 v44, -0.5, v51, v43
	;; [unrolled: 1-line block ×4, first 2 shown]
	v_add_f32_e32 v43, v13, v82
	v_add_f32_e32 v21, v83, v21
	v_add_f32_e32 v63, v140, v141
	v_sub_f32_e32 v41, v14, v15
	v_sub_f32_e32 v66, v13, v15
	v_add_f32_e32 v137, v121, v123
	v_fmamk_f32 v7, v132, 0xbf737871, v3
	v_fmamk_f32 v6, v139, 0x3f737871, v2
	v_fmac_f32_e32 v3, 0x3f737871, v132
	v_fmac_f32_e32 v2, 0xbf737871, v139
	v_add_f32_e32 v23, v70, v23
	v_add_f32_e32 v140, v48, v49
	;; [unrolled: 1-line block ×3, first 2 shown]
	v_fma_f32 v53, -0.5, v88, v124
	v_fma_f32 v52, -0.5, v118, v42
	v_fma_f32 v48, -0.5, v135, v42
	v_add_f32_e32 v56, v71, v56
	v_fmac_f32_e32 v5, 0x3f167918, v132
	v_fmac_f32_e32 v4, 0xbf167918, v139
	;; [unrolled: 1-line block ×4, first 2 shown]
	v_fmamk_f32 v42, v58, 0xbf737871, v11
	v_add_f32_e32 v15, v15, v43
	v_add_f32_e32 v21, v21, v27
	v_fmac_f32_e32 v11, 0x3f737871, v58
	v_add_f32_e32 v59, v143, v144
	v_sub_f32_e32 v85, v72, v105
	v_sub_f32_e32 v86, v50, v77
	v_add_f32_e32 v70, v9, v41
	v_fmac_f32_e32 v7, 0x3f167918, v133
	v_fmac_f32_e32 v6, 0xbf167918, v138
	;; [unrolled: 1-line block ×4, first 2 shown]
	v_add_f32_e32 v9, v68, v23
	v_add_f32_e32 v8, v12, v8
	v_fmamk_f32 v13, v64, 0x3f737871, v45
	v_fmamk_f32 v12, v65, 0xbf737871, v44
	v_fmac_f32_e32 v45, 0xbf737871, v64
	v_fmac_f32_e32 v44, 0x3f737871, v65
	v_fmamk_f32 v51, v87, 0x3f737871, v53
	v_fmac_f32_e32 v53, 0xbf737871, v87
	v_add_f32_e32 v23, v105, v56
	v_fmac_f32_e32 v5, 0x3e9e377a, v46
	v_fmac_f32_e32 v4, 0x3e9e377a, v47
	;; [unrolled: 1-line block ×5, first 2 shown]
	v_add_f32_e32 v47, v14, v15
	v_add_f32_e32 v46, v146, v21
	v_fmac_f32_e32 v11, 0xbf167918, v64
	v_add_f32_e32 v14, v79, v39
	v_fma_f32 v64, -0.5, v137, v62
	v_sub_f32_e32 v21, v74, v80
	v_sub_f32_e32 v67, v27, v146
	v_add_f32_e32 v81, v84, v85
	v_fmamk_f32 v41, v66, 0x3f737871, v10
	v_fmac_f32_e32 v10, 0xbf737871, v66
	v_fmac_f32_e32 v7, 0x3e9e377a, v63
	;; [unrolled: 1-line block ×9, first 2 shown]
	v_add_f32_e32 v59, v72, v23
	v_sub_f32_e32 v15, v120, v121
	v_sub_f32_e32 v23, v122, v123
	v_fma_f32 v63, -0.5, v14, v37
	v_sub_f32_e32 v27, v120, v122
	v_sub_f32_e32 v43, v79, v39
	v_fmamk_f32 v66, v21, 0xbf737871, v64
	v_fmac_f32_e32 v64, 0x3f737871, v21
	v_sub_f32_e32 v126, v71, v105
	v_add_f32_e32 v67, v55, v67
	v_add_f32_e32 v71, v136, v50
	v_fmac_f32_e32 v41, 0xbf167918, v65
	v_fmac_f32_e32 v10, 0x3f167918, v65
	;; [unrolled: 1-line block ×4, first 2 shown]
	v_sub_f32_e32 v14, v74, v79
	v_sub_f32_e32 v56, v80, v39
	v_fmamk_f32 v65, v27, 0x3f737871, v63
	v_sub_f32_e32 v81, v121, v123
	v_add_f32_e32 v15, v15, v23
	v_fmac_f32_e32 v66, 0x3f167918, v43
	v_fmac_f32_e32 v63, 0xbf737871, v27
	;; [unrolled: 1-line block ×7, first 2 shown]
	v_add_f32_e32 v58, v71, v77
	v_add_f32_e32 v14, v14, v56
	v_fmac_f32_e32 v65, 0xbf167918, v81
	v_fmac_f32_e32 v66, 0x3e9e377a, v15
	v_add_f32_e32 v23, v120, v122
	v_fmac_f32_e32 v63, 0x3f167918, v81
	v_sub_f32_e32 v56, v121, v120
	v_sub_f32_e32 v67, v123, v122
	v_fmac_f32_e32 v64, 0x3e9e377a, v15
	v_add_f32_e32 v15, v74, v80
	v_add_nc_u32_e32 v71, 0x1200, v109
	v_sub_f32_e32 v107, v78, v77
	v_sub_f32_e32 v134, v77, v78
	v_add_f32_e32 v58, v78, v58
	v_fmac_f32_e32 v65, 0x3e9e377a, v14
	v_fma_f32 v68, -0.5, v23, v62
	v_fmac_f32_e32 v63, 0x3e9e377a, v14
	v_add_f32_e32 v23, v56, v67
	v_fma_f32 v67, -0.5, v15, v37
	ds_read2_b32 v[14:15], v69 offset0:192 offset1:248
	ds_read2_b32 v[77:78], v71 offset0:80 offset1:136
	v_fmac_f32_e32 v13, 0x3e9e377a, v70
	v_fmac_f32_e32 v45, 0x3e9e377a, v70
	v_fmamk_f32 v70, v43, 0xbf737871, v68
	v_add_f32_e32 v37, v37, v79
	v_fmac_f32_e32 v68, 0x3f737871, v43
	v_add_f32_e32 v62, v121, v62
	v_fmamk_f32 v69, v81, 0x3f737871, v67
	v_fmac_f32_e32 v70, 0xbf167918, v21
	v_add_f32_e32 v37, v74, v37
	v_fmac_f32_e32 v68, 0x3f167918, v21
	v_fmac_f32_e32 v67, 0xbf737871, v81
	v_fma_f32 v49, -0.5, v129, v124
	v_fmamk_f32 v50, v119, 0xbf737871, v52
	v_fmac_f32_e32 v52, 0x3f737871, v119
	v_add_f32_e32 v62, v120, v62
	v_fmac_f32_e32 v69, 0x3f167918, v27
	v_fmac_f32_e32 v70, 0x3e9e377a, v23
	v_add_f32_e32 v37, v37, v80
	s_waitcnt vmcnt(5) lgkmcnt(1)
	v_mul_f32_e32 v21, v89, v15
	v_mul_f32_e32 v43, v91, v73
	v_fmac_f32_e32 v68, 0x3e9e377a, v23
	v_fmac_f32_e32 v67, 0xbf167918, v27
	s_waitcnt vmcnt(4) lgkmcnt(0)
	v_mul_f32_e32 v23, v93, v78
	v_mul_f32_e32 v27, v95, v130
	v_sub_f32_e32 v128, v105, v72
	v_add_f32_e32 v82, v106, v107
	v_fmamk_f32 v55, v86, 0xbf737871, v49
	v_fmac_f32_e32 v49, 0x3f737871, v86
	v_fmac_f32_e32 v50, 0xbf167918, v126
	v_fmac_f32_e32 v52, 0x3f167918, v126
	v_sub_f32_e32 v56, v79, v74
	v_sub_f32_e32 v72, v39, v80
	v_add_f32_e32 v62, v122, v62
	v_add_f32_e32 v71, v37, v39
	v_fmac_f32_e32 v21, v35, v90
	v_fmac_f32_e32 v43, v40, v92
	v_mul_f32_e32 v15, v90, v15
	v_mul_f32_e32 v37, v96, v130
	v_fmac_f32_e32 v23, v33, v94
	v_fmac_f32_e32 v27, v38, v96
	v_add_f32_e32 v83, v127, v128
	v_fmamk_f32 v54, v126, 0x3f737871, v48
	v_fmac_f32_e32 v48, 0xbf737871, v126
	v_fmac_f32_e32 v55, 0x3f167918, v87
	;; [unrolled: 1-line block ×5, first 2 shown]
	v_add_f32_e32 v56, v56, v72
	v_add_f32_e32 v72, v123, v62
	v_mul_f32_e32 v39, v92, v73
	v_mul_f32_e32 v62, v94, v78
	v_fma_f32 v15, v35, v89, -v15
	v_fma_f32 v82, v38, v95, -v37
	v_add_f32_e32 v35, v43, v23
	v_sub_f32_e32 v80, v43, v21
	v_sub_f32_e32 v81, v23, v27
	v_add_f32_e32 v84, v131, v134
	v_fmac_f32_e32 v54, 0xbf167918, v119
	v_fmac_f32_e32 v48, 0x3f167918, v119
	v_fmac_f32_e32 v55, 0x3e9e377a, v83
	v_fmac_f32_e32 v49, 0x3e9e377a, v83
	v_fma_f32 v83, v40, v91, -v39
	v_fma_f32 v33, v33, v93, -v62
	v_sub_f32_e32 v62, v15, v82
	v_fma_f32 v40, -0.5, v35, v61
	v_sub_f32_e32 v35, v21, v43
	v_sub_f32_e32 v73, v27, v23
	v_add_f32_e32 v89, v80, v81
	ds_read2_b32 v[80:81], v75 offset0:16 offset1:72
	ds_read2_b32 v[75:76], v76 offset0:32 offset1:88
	v_fmac_f32_e32 v54, 0x3e9e377a, v84
	v_fmac_f32_e32 v48, 0x3e9e377a, v84
	v_sub_f32_e32 v84, v83, v33
	v_fmamk_f32 v38, v62, 0x3f737871, v40
	v_add_f32_e32 v35, v35, v73
	v_sub_f32_e32 v73, v15, v83
	v_sub_f32_e32 v74, v82, v33
	v_add_f32_e32 v79, v15, v82
	v_fmac_f32_e32 v40, 0xbf737871, v62
	v_fmac_f32_e32 v69, 0x3e9e377a, v56
	v_add_f32_e32 v37, v83, v33
	v_fmac_f32_e32 v67, 0x3e9e377a, v56
	v_sub_f32_e32 v56, v21, v27
	v_fmac_f32_e32 v38, 0x3f167918, v84
	v_add_f32_e32 v78, v21, v27
	v_sub_f32_e32 v85, v43, v23
	v_add_f32_e32 v86, v73, v74
	v_fma_f32 v73, -0.5, v79, v36
	v_fmac_f32_e32 v40, 0xbf167918, v84
	v_add_f32_e32 v21, v21, v61
	v_fma_f32 v39, -0.5, v37, v36
	v_fmac_f32_e32 v38, 0x3e9e377a, v35
	v_fma_f32 v74, -0.5, v78, v61
	v_sub_f32_e32 v87, v83, v15
	v_fmamk_f32 v78, v85, 0x3f737871, v73
	v_fmac_f32_e32 v73, 0xbf737871, v85
	v_fmac_f32_e32 v40, 0x3e9e377a, v35
	v_add_f32_e32 v21, v43, v21
	v_add_f32_e32 v15, v36, v15
	ds_read2_b32 v[35:36], v109 offset1:56
	v_fmamk_f32 v37, v56, 0xbf737871, v39
	v_fmamk_f32 v79, v84, 0xbf737871, v74
	v_fmac_f32_e32 v78, 0xbf167918, v56
	v_fmac_f32_e32 v74, 0x3f737871, v84
	;; [unrolled: 1-line block ×4, first 2 shown]
	s_waitcnt vmcnt(3)
	v_mul_f32_e32 v43, v97, v14
	s_waitcnt lgkmcnt(2)
	v_mul_f32_e32 v56, v99, v81
	v_add_f32_e32 v21, v23, v21
	v_add_f32_e32 v15, v15, v83
	s_waitcnt vmcnt(2) lgkmcnt(1)
	v_mul_f32_e32 v23, v103, v76
	v_mul_f32_e32 v83, v101, v77
	v_fmac_f32_e32 v79, 0x3f167918, v62
	v_fmac_f32_e32 v74, 0xbf167918, v62
	;; [unrolled: 1-line block ×4, first 2 shown]
	v_add_f32_e32 v21, v27, v21
	v_fmac_f32_e32 v23, v26, v104
	v_mul_f32_e32 v14, v98, v14
	v_mul_f32_e32 v27, v104, v76
	v_fmac_f32_e32 v83, v32, v102
	v_mul_f32_e32 v61, v100, v81
	v_mul_f32_e32 v62, v102, v77
	v_sub_f32_e32 v88, v33, v82
	v_fma_f32 v14, v34, v97, -v14
	v_fma_f32 v34, v26, v103, -v27
	v_add_f32_e32 v26, v56, v83
	v_fma_f32 v81, v20, v99, -v61
	v_fma_f32 v84, v32, v101, -v62
	v_add_f32_e32 v62, v43, v23
	v_fmac_f32_e32 v37, 0xbf167918, v85
	v_add_f32_e32 v87, v87, v88
	v_fmac_f32_e32 v39, 0x3f167918, v85
	v_add_f32_e32 v15, v15, v33
	v_sub_f32_e32 v33, v43, v56
	v_sub_f32_e32 v76, v23, v83
	;; [unrolled: 1-line block ×3, first 2 shown]
	s_waitcnt lgkmcnt(0)
	v_fma_f32 v27, -0.5, v26, v36
	v_sub_f32_e32 v32, v14, v81
	v_sub_f32_e32 v61, v34, v84
	v_fma_f32 v62, -0.5, v62, v36
	v_add_f32_e32 v36, v43, v36
	v_fmac_f32_e32 v78, 0x3e9e377a, v87
	v_fmac_f32_e32 v73, 0x3e9e377a, v87
	v_add_f32_e32 v20, v82, v15
	v_add_f32_e32 v15, v33, v76
	;; [unrolled: 1-line block ×3, first 2 shown]
	v_sub_f32_e32 v82, v81, v84
	v_fmamk_f32 v33, v85, 0x3f737871, v27
	v_add_f32_e32 v87, v32, v61
	v_add_f32_e32 v61, v14, v34
	v_sub_f32_e32 v91, v81, v14
	v_fmac_f32_e32 v27, 0xbf737871, v85
	v_add_f32_e32 v36, v56, v36
	v_add_f32_e32 v14, v18, v14
	v_fmac_f32_e32 v37, 0x3e9e377a, v86
	v_fmac_f32_e32 v79, 0x3e9e377a, v89
	;; [unrolled: 1-line block ×4, first 2 shown]
	v_fma_f32 v26, -0.5, v26, v18
	v_sub_f32_e32 v86, v43, v23
	v_fmac_f32_e32 v33, 0x3f167918, v82
	v_sub_f32_e32 v89, v56, v43
	v_fma_f32 v61, -0.5, v61, v18
	v_fmamk_f32 v77, v82, 0xbf737871, v62
	v_fmac_f32_e32 v62, 0x3f737871, v82
	v_fmac_f32_e32 v27, 0xbf167918, v82
	v_add_f32_e32 v18, v83, v36
	v_add_f32_e32 v14, v14, v81
	s_waitcnt vmcnt(1)
	v_mul_f32_e32 v36, v110, v60
	v_mul_f32_e32 v43, v112, v80
	s_waitcnt vmcnt(0)
	v_mul_f32_e32 v81, v116, v75
	v_mul_f32_e32 v82, v114, v57
	v_sub_f32_e32 v88, v56, v83
	v_sub_f32_e32 v90, v83, v23
	v_fmac_f32_e32 v33, 0x3e9e377a, v15
	v_fmac_f32_e32 v27, 0x3e9e377a, v15
	v_add_f32_e32 v23, v23, v18
	v_fmac_f32_e32 v36, v24, v111
	v_fmac_f32_e32 v43, v19, v113
	;; [unrolled: 1-line block ×3, first 2 shown]
	v_mul_f32_e32 v15, v111, v60
	v_mul_f32_e32 v18, v117, v75
	v_fmac_f32_e32 v82, v22, v115
	v_mul_f32_e32 v56, v113, v80
	v_mul_f32_e32 v57, v115, v57
	v_fma_f32 v60, v24, v110, -v15
	v_fma_f32 v75, v25, v116, -v18
	v_sub_f32_e32 v18, v36, v43
	v_fma_f32 v80, v19, v112, -v56
	v_fma_f32 v83, v22, v114, -v57
	v_sub_f32_e32 v24, v81, v82
	v_fmac_f32_e32 v77, 0x3f167918, v85
	v_fmac_f32_e32 v62, 0xbf167918, v85
	v_add_f32_e32 v14, v14, v84
	v_add_f32_e32 v25, v80, v83
	;; [unrolled: 1-line block ×4, first 2 shown]
	v_fmamk_f32 v76, v88, 0x3f737871, v61
	v_add_f32_e32 v89, v89, v90
	v_fmac_f32_e32 v61, 0xbf737871, v88
	v_add_f32_e32 v15, v43, v82
	v_add_f32_e32 v22, v34, v14
	v_fma_f32 v14, -0.5, v25, v17
	v_fma_f32 v25, -0.5, v24, v35
	v_add_f32_e32 v24, v60, v75
	v_fmamk_f32 v32, v86, 0xbf737871, v26
	v_fmac_f32_e32 v76, 0xbf167918, v86
	v_fmac_f32_e32 v77, 0x3e9e377a, v89
	;; [unrolled: 1-line block ×5, first 2 shown]
	v_fma_f32 v15, -0.5, v15, v35
	v_sub_f32_e32 v86, v36, v81
	v_sub_f32_e32 v89, v43, v36
	v_add_f32_e32 v35, v36, v35
	v_mul_hi_u32 v36, 0x5397829d, v108
	v_fma_f32 v24, -0.5, v24, v17
	v_add_f32_e32 v17, v17, v60
	v_sub_f32_e32 v92, v84, v34
	v_sub_f32_e32 v84, v60, v75
	;; [unrolled: 1-line block ×3, first 2 shown]
	v_fmac_f32_e32 v32, 0xbf167918, v88
	v_add_f32_e32 v17, v17, v80
	v_lshrrev_b32_e32 v36, 7, v36
	v_fmamk_f32 v19, v84, 0x3f737871, v15
	v_fmac_f32_e32 v15, 0xbf737871, v84
	v_add_f32_e32 v90, v91, v92
	v_add_f32_e32 v17, v17, v83
	v_mul_u32_u24_e32 v36, 0x188, v36
	v_fmac_f32_e32 v19, 0x3f167918, v34
	v_fmamk_f32 v57, v34, 0x3f737871, v25
	v_fmac_f32_e32 v15, 0xbf167918, v34
	v_fmac_f32_e32 v25, 0xbf737871, v34
	v_add_f32_e32 v34, v75, v17
	v_sub_nc_u32_e32 v17, v108, v36
	v_fmac_f32_e32 v76, 0x3e9e377a, v90
	v_fmac_f32_e32 v26, 0x3f167918, v88
	;; [unrolled: 1-line block ×3, first 2 shown]
	v_sub_f32_e32 v90, v82, v81
	v_add_nc_u32_e32 v36, 56, v108
	v_sub_f32_e32 v88, v43, v82
	v_add_f32_e32 v35, v43, v35
	v_lshlrev_b32_e32 v17, 3, v17
	v_add_co_u32 v43, vcc_lo, v30, v28
	v_fmac_f32_e32 v32, 0x3e9e377a, v87
	v_fmac_f32_e32 v26, 0x3e9e377a, v87
	v_sub_f32_e32 v56, v60, v80
	v_sub_f32_e32 v87, v75, v83
	v_fmamk_f32 v18, v86, 0xbf737871, v14
	v_add_f32_e32 v89, v89, v90
	v_sub_f32_e32 v90, v80, v60
	v_fmac_f32_e32 v14, 0x3f737871, v86
	v_add_co_ci_u32_e32 v60, vcc_lo, v31, v29, vcc_lo
	v_sub_f32_e32 v91, v83, v75
	v_mul_hi_u32 v75, 0x5397829d, v36
	v_add_co_u32 v28, vcc_lo, v43, v17
	v_add_f32_e32 v35, v82, v35
	v_add_f32_e32 v87, v56, v87
	v_fmac_f32_e32 v14, 0x3f167918, v88
	v_add_co_ci_u32_e32 v29, vcc_lo, 0, v60, vcc_lo
	v_add_co_u32 v30, vcc_lo, 0x800, v28
	v_add_f32_e32 v35, v81, v35
	v_lshrrev_b32_e32 v17, 7, v75
	v_fmac_f32_e32 v15, 0x3e9e377a, v85
	v_fmac_f32_e32 v14, 0x3e9e377a, v87
	v_add_co_ci_u32_e32 v31, vcc_lo, 0, v29, vcc_lo
	global_store_dwordx2 v[28:29], v[34:35], off
	global_store_dwordx2 v[30:31], v[14:15], off offset:1088
	v_mul_u32_u24_e32 v14, 0x188, v17
	v_fmamk_f32 v56, v88, 0xbf737871, v24
	v_fmac_f32_e32 v24, 0x3f737871, v88
	v_fmac_f32_e32 v57, 0xbf167918, v84
	v_add_f32_e32 v90, v90, v91
	v_sub_nc_u32_e32 v14, v36, v14
	v_fmac_f32_e32 v56, 0x3f167918, v86
	v_add_co_u32 v30, vcc_lo, 0x1800, v28
	v_fmac_f32_e32 v25, 0x3f167918, v84
	v_fmac_f32_e32 v24, 0xbf167918, v86
	v_add_co_ci_u32_e32 v31, vcc_lo, 0, v29, vcc_lo
	v_mad_u32_u24 v15, 0x7a8, v17, v14
	v_fmac_f32_e32 v18, 0xbf167918, v88
	v_add_co_u32 v34, vcc_lo, 0x2000, v28
	v_fmac_f32_e32 v57, 0x3e9e377a, v89
	v_fmac_f32_e32 v56, 0x3e9e377a, v90
	v_add_co_ci_u32_e32 v35, vcc_lo, 0, v29, vcc_lo
	v_add_co_u32 v28, vcc_lo, 0x3000, v28
	v_fmac_f32_e32 v25, 0x3e9e377a, v89
	v_fmac_f32_e32 v24, 0x3e9e377a, v90
	v_add_nc_u32_e32 v80, 0x188, v15
	v_mov_b32_e32 v81, v16
	v_add_nc_u32_e32 v14, 0x70, v108
	v_fmac_f32_e32 v19, 0x3e9e377a, v85
	v_fmac_f32_e32 v18, 0x3e9e377a, v87
	v_add_co_ci_u32_e32 v29, vcc_lo, 0, v29, vcc_lo
	global_store_dwordx2 v[30:31], v[56:57], off offset:128
	v_lshlrev_b64 v[30:31], 3, v[15:16]
	global_store_dwordx2 v[34:35], v[24:25], off offset:1216
	global_store_dwordx2 v[28:29], v[18:19], off offset:256
	v_lshlrev_b64 v[17:18], 3, v[80:81]
	v_mul_hi_u32 v19, 0x5397829d, v14
	v_add_nc_u32_e32 v28, 0x310, v15
	v_mov_b32_e32 v29, v16
	v_add_co_u32 v24, vcc_lo, v43, v30
	v_add_co_ci_u32_e32 v25, vcc_lo, v60, v31, vcc_lo
	v_add_co_u32 v17, vcc_lo, v43, v17
	v_add_co_ci_u32_e32 v18, vcc_lo, v60, v18, vcc_lo
	v_lshrrev_b32_e32 v19, 7, v19
	global_store_dwordx2 v[24:25], v[22:23], off
	v_lshlrev_b64 v[22:23], 3, v[28:29]
	global_store_dwordx2 v[17:18], v[26:27], off
	v_add_nc_u32_e32 v30, 0x498, v15
	v_mul_u32_u24_e32 v26, 0x188, v19
	v_mov_b32_e32 v31, v16
	v_add_nc_u32_e32 v15, 0x620, v15
	v_add_co_u32 v22, vcc_lo, v43, v22
	v_sub_nc_u32_e32 v14, v14, v26
	v_lshlrev_b64 v[17:18], 3, v[30:31]
	v_add_co_ci_u32_e32 v23, vcc_lo, v60, v23, vcc_lo
	v_lshlrev_b64 v[24:25], 3, v[15:16]
	v_mad_u32_u24 v15, 0x7a8, v19, v14
	v_add_nc_u32_e32 v14, 0xa8, v108
	v_add_co_u32 v17, vcc_lo, v43, v17
	global_store_dwordx2 v[22:23], v[61:62], off
	v_lshlrev_b64 v[22:23], 3, v[15:16]
	v_add_co_ci_u32_e32 v18, vcc_lo, v60, v18, vcc_lo
	v_add_co_u32 v24, vcc_lo, v43, v24
	v_add_co_ci_u32_e32 v25, vcc_lo, v60, v25, vcc_lo
	v_add_nc_u32_e32 v26, 0x188, v15
	v_mov_b32_e32 v27, v16
	v_mul_hi_u32 v19, 0x5397829d, v14
	v_add_co_u32 v22, vcc_lo, v43, v22
	v_add_co_ci_u32_e32 v23, vcc_lo, v60, v23, vcc_lo
	global_store_dwordx2 v[17:18], v[76:77], off
	global_store_dwordx2 v[24:25], v[32:33], off
	v_lshlrev_b64 v[17:18], 3, v[26:27]
	v_add_nc_u32_e32 v24, 0x310, v15
	v_mov_b32_e32 v25, v16
	global_store_dwordx2 v[22:23], v[20:21], off
	v_lshrrev_b32_e32 v23, 7, v19
	v_add_nc_u32_e32 v26, 0x498, v15
	v_add_co_u32 v17, vcc_lo, v43, v17
	v_add_co_ci_u32_e32 v18, vcc_lo, v60, v18, vcc_lo
	v_lshlrev_b64 v[19:20], 3, v[24:25]
	v_mul_u32_u24_e32 v24, 0x188, v23
	v_add_nc_u32_e32 v15, 0x620, v15
	global_store_dwordx2 v[17:18], v[39:40], off
	v_lshlrev_b64 v[17:18], 3, v[26:27]
	v_fmac_f32_e32 v44, 0x3e9e377a, v140
	v_sub_nc_u32_e32 v14, v14, v24
	v_add_co_u32 v19, vcc_lo, v43, v19
	v_lshlrev_b64 v[21:22], 3, v[15:16]
	v_add_co_ci_u32_e32 v20, vcc_lo, v60, v20, vcc_lo
	v_mad_u32_u24 v15, 0x7a8, v23, v14
	v_add_co_u32 v17, vcc_lo, v43, v17
	v_add_co_ci_u32_e32 v18, vcc_lo, v60, v18, vcc_lo
	v_add_co_u32 v21, vcc_lo, v43, v21
	v_add_nc_u32_e32 v23, 0x188, v15
	v_mov_b32_e32 v24, v16
	v_add_nc_u32_e32 v14, 0xe0, v108
	v_add_co_ci_u32_e32 v22, vcc_lo, v60, v22, vcc_lo
	global_store_dwordx2 v[19:20], v[73:74], off
	v_lshlrev_b64 v[19:20], 3, v[15:16]
	global_store_dwordx2 v[17:18], v[78:79], off
	global_store_dwordx2 v[21:22], v[37:38], off
	v_lshlrev_b64 v[17:18], 3, v[23:24]
	v_mul_hi_u32 v25, 0x5397829d, v14
	v_add_nc_u32_e32 v23, 0x498, v15
	v_add_nc_u32_e32 v21, 0x310, v15
	v_add_co_u32 v19, vcc_lo, v43, v19
	v_add_co_ci_u32_e32 v20, vcc_lo, v60, v20, vcc_lo
	v_add_co_u32 v17, vcc_lo, v43, v17
	v_add_co_ci_u32_e32 v18, vcc_lo, v60, v18, vcc_lo
	v_lshrrev_b32_e32 v25, 7, v25
	v_mov_b32_e32 v22, v16
	global_store_dwordx2 v[19:20], v[71:72], off
	global_store_dwordx2 v[17:18], v[69:70], off
	v_lshlrev_b64 v[17:18], 3, v[23:24]
	v_mul_u32_u24_e32 v23, 0x188, v25
	v_lshlrev_b64 v[19:20], 3, v[21:22]
	v_add_nc_u32_e32 v15, 0x620, v15
	v_fmac_f32_e32 v11, 0x3e9e377a, v141
	v_fmac_f32_e32 v42, 0x3e9e377a, v141
	v_sub_nc_u32_e32 v14, v14, v23
	v_fmac_f32_e32 v12, 0x3e9e377a, v140
	v_add_co_u32 v19, vcc_lo, v43, v19
	v_lshlrev_b64 v[21:22], 3, v[15:16]
	v_add_co_ci_u32_e32 v20, vcc_lo, v60, v20, vcc_lo
	v_mad_u32_u24 v15, 0x7a8, v25, v14
	v_add_co_u32 v17, vcc_lo, v43, v17
	v_add_co_ci_u32_e32 v18, vcc_lo, v60, v18, vcc_lo
	v_add_co_u32 v21, vcc_lo, v43, v21
	v_add_nc_u32_e32 v23, 0x188, v15
	v_add_nc_u32_e32 v14, 0x118, v108
	v_add_co_ci_u32_e32 v22, vcc_lo, v60, v22, vcc_lo
	global_store_dwordx2 v[19:20], v[63:64], off
	v_lshlrev_b64 v[19:20], 3, v[15:16]
	global_store_dwordx2 v[17:18], v[65:66], off
	global_store_dwordx2 v[21:22], v[67:68], off
	v_lshlrev_b64 v[17:18], 3, v[23:24]
	v_mul_hi_u32 v25, 0x5397829d, v14
	v_add_nc_u32_e32 v23, 0x498, v15
	v_add_nc_u32_e32 v21, 0x310, v15
	v_add_co_u32 v19, vcc_lo, v43, v19
	v_add_co_ci_u32_e32 v20, vcc_lo, v60, v20, vcc_lo
	v_add_co_u32 v17, vcc_lo, v43, v17
	v_add_co_ci_u32_e32 v18, vcc_lo, v60, v18, vcc_lo
	v_lshrrev_b32_e32 v25, 7, v25
	v_mov_b32_e32 v22, v16
	global_store_dwordx2 v[19:20], v[58:59], off
	global_store_dwordx2 v[17:18], v[52:53], off
	v_lshlrev_b64 v[17:18], 3, v[23:24]
	v_mul_u32_u24_e32 v23, 0x188, v25
	v_lshlrev_b64 v[19:20], 3, v[21:22]
	v_add_nc_u32_e32 v15, 0x620, v15
	v_sub_nc_u32_e32 v14, v14, v23
	v_add_co_u32 v19, vcc_lo, v43, v19
	v_lshlrev_b64 v[21:22], 3, v[15:16]
	v_add_co_ci_u32_e32 v20, vcc_lo, v60, v20, vcc_lo
	v_mad_u32_u24 v15, 0x7a8, v25, v14
	v_add_co_u32 v17, vcc_lo, v43, v17
	v_add_co_ci_u32_e32 v18, vcc_lo, v60, v18, vcc_lo
	v_add_co_u32 v21, vcc_lo, v43, v21
	v_add_nc_u32_e32 v23, 0x188, v15
	v_add_nc_u32_e32 v14, 0x150, v108
	v_add_co_ci_u32_e32 v22, vcc_lo, v60, v22, vcc_lo
	global_store_dwordx2 v[19:20], v[48:49], off
	v_lshlrev_b64 v[19:20], 3, v[15:16]
	global_store_dwordx2 v[17:18], v[54:55], off
	global_store_dwordx2 v[21:22], v[50:51], off
	v_lshlrev_b64 v[17:18], 3, v[23:24]
	v_mul_hi_u32 v25, 0x5397829d, v14
	v_add_nc_u32_e32 v23, 0x498, v15
	v_add_nc_u32_e32 v21, 0x310, v15
	v_add_co_u32 v19, vcc_lo, v43, v19
	v_add_co_ci_u32_e32 v20, vcc_lo, v60, v20, vcc_lo
	v_add_co_u32 v17, vcc_lo, v43, v17
	v_add_co_ci_u32_e32 v18, vcc_lo, v60, v18, vcc_lo
	v_lshrrev_b32_e32 v25, 7, v25
	v_mov_b32_e32 v22, v16
	global_store_dwordx2 v[19:20], v[46:47], off
	global_store_dwordx2 v[17:18], v[44:45], off
	v_lshlrev_b64 v[17:18], 3, v[23:24]
	v_mul_u32_u24_e32 v23, 0x188, v25
	v_lshlrev_b64 v[19:20], 3, v[21:22]
	v_add_nc_u32_e32 v15, 0x620, v15
	v_sub_nc_u32_e32 v14, v14, v23
	v_add_co_u32 v19, vcc_lo, v43, v19
	v_lshlrev_b64 v[21:22], 3, v[15:16]
	v_add_co_ci_u32_e32 v20, vcc_lo, v60, v20, vcc_lo
	v_add_co_u32 v17, vcc_lo, v43, v17
	v_mad_u32_u24 v15, 0x7a8, v25, v14
	v_add_co_ci_u32_e32 v18, vcc_lo, v60, v18, vcc_lo
	v_add_co_u32 v21, vcc_lo, v43, v21
	v_add_co_ci_u32_e32 v22, vcc_lo, v60, v22, vcc_lo
	v_add_nc_u32_e32 v23, 0x188, v15
	global_store_dwordx2 v[19:20], v[10:11], off
	global_store_dwordx2 v[17:18], v[41:42], off
	v_lshlrev_b64 v[10:11], 3, v[15:16]
	v_add_nc_u32_e32 v17, 0x310, v15
	v_mov_b32_e32 v18, v16
	global_store_dwordx2 v[21:22], v[12:13], off
	v_lshlrev_b64 v[12:13], 3, v[23:24]
	v_add_nc_u32_e32 v19, 0x498, v15
	v_mov_b32_e32 v20, v16
	v_add_co_u32 v10, vcc_lo, v43, v10
	v_lshlrev_b64 v[17:18], 3, v[17:18]
	v_add_nc_u32_e32 v15, 0x620, v15
	v_add_co_ci_u32_e32 v11, vcc_lo, v60, v11, vcc_lo
	v_add_co_u32 v12, vcc_lo, v43, v12
	v_lshlrev_b64 v[19:20], 3, v[19:20]
	v_add_co_ci_u32_e32 v13, vcc_lo, v60, v13, vcc_lo
	v_add_co_u32 v17, vcc_lo, v43, v17
	v_lshlrev_b64 v[14:15], 3, v[15:16]
	v_add_co_ci_u32_e32 v18, vcc_lo, v60, v18, vcc_lo
	v_add_co_u32 v19, vcc_lo, v43, v19
	v_add_co_ci_u32_e32 v20, vcc_lo, v60, v20, vcc_lo
	v_add_co_u32 v14, vcc_lo, v43, v14
	v_add_co_ci_u32_e32 v15, vcc_lo, v60, v15, vcc_lo
	global_store_dwordx2 v[10:11], v[8:9], off
	global_store_dwordx2 v[12:13], v[0:1], off
	;; [unrolled: 1-line block ×5, first 2 shown]
.LBB0_29:
	s_endpgm
	.section	.rodata,"a",@progbits
	.p2align	6, 0x0
	.amdhsa_kernel fft_rtc_fwd_len1960_factors_4_7_2_7_5_wgs_56_tpt_56_halfLds_sp_op_CI_CI_unitstride_sbrr_dirReg
		.amdhsa_group_segment_fixed_size 0
		.amdhsa_private_segment_fixed_size 0
		.amdhsa_kernarg_size 104
		.amdhsa_user_sgpr_count 6
		.amdhsa_user_sgpr_private_segment_buffer 1
		.amdhsa_user_sgpr_dispatch_ptr 0
		.amdhsa_user_sgpr_queue_ptr 0
		.amdhsa_user_sgpr_kernarg_segment_ptr 1
		.amdhsa_user_sgpr_dispatch_id 0
		.amdhsa_user_sgpr_flat_scratch_init 0
		.amdhsa_user_sgpr_private_segment_size 0
		.amdhsa_wavefront_size32 1
		.amdhsa_uses_dynamic_stack 0
		.amdhsa_system_sgpr_private_segment_wavefront_offset 0
		.amdhsa_system_sgpr_workgroup_id_x 1
		.amdhsa_system_sgpr_workgroup_id_y 0
		.amdhsa_system_sgpr_workgroup_id_z 0
		.amdhsa_system_sgpr_workgroup_info 0
		.amdhsa_system_vgpr_workitem_id 0
		.amdhsa_next_free_vgpr 163
		.amdhsa_next_free_sgpr 27
		.amdhsa_reserve_vcc 1
		.amdhsa_reserve_flat_scratch 0
		.amdhsa_float_round_mode_32 0
		.amdhsa_float_round_mode_16_64 0
		.amdhsa_float_denorm_mode_32 3
		.amdhsa_float_denorm_mode_16_64 3
		.amdhsa_dx10_clamp 1
		.amdhsa_ieee_mode 1
		.amdhsa_fp16_overflow 0
		.amdhsa_workgroup_processor_mode 1
		.amdhsa_memory_ordered 1
		.amdhsa_forward_progress 0
		.amdhsa_shared_vgpr_count 0
		.amdhsa_exception_fp_ieee_invalid_op 0
		.amdhsa_exception_fp_denorm_src 0
		.amdhsa_exception_fp_ieee_div_zero 0
		.amdhsa_exception_fp_ieee_overflow 0
		.amdhsa_exception_fp_ieee_underflow 0
		.amdhsa_exception_fp_ieee_inexact 0
		.amdhsa_exception_int_div_zero 0
	.end_amdhsa_kernel
	.text
.Lfunc_end0:
	.size	fft_rtc_fwd_len1960_factors_4_7_2_7_5_wgs_56_tpt_56_halfLds_sp_op_CI_CI_unitstride_sbrr_dirReg, .Lfunc_end0-fft_rtc_fwd_len1960_factors_4_7_2_7_5_wgs_56_tpt_56_halfLds_sp_op_CI_CI_unitstride_sbrr_dirReg
                                        ; -- End function
	.section	.AMDGPU.csdata,"",@progbits
; Kernel info:
; codeLenInByte = 19644
; NumSgprs: 29
; NumVgprs: 163
; ScratchSize: 0
; MemoryBound: 0
; FloatMode: 240
; IeeeMode: 1
; LDSByteSize: 0 bytes/workgroup (compile time only)
; SGPRBlocks: 3
; VGPRBlocks: 20
; NumSGPRsForWavesPerEU: 29
; NumVGPRsForWavesPerEU: 163
; Occupancy: 5
; WaveLimiterHint : 1
; COMPUTE_PGM_RSRC2:SCRATCH_EN: 0
; COMPUTE_PGM_RSRC2:USER_SGPR: 6
; COMPUTE_PGM_RSRC2:TRAP_HANDLER: 0
; COMPUTE_PGM_RSRC2:TGID_X_EN: 1
; COMPUTE_PGM_RSRC2:TGID_Y_EN: 0
; COMPUTE_PGM_RSRC2:TGID_Z_EN: 0
; COMPUTE_PGM_RSRC2:TIDIG_COMP_CNT: 0
	.text
	.p2alignl 6, 3214868480
	.fill 48, 4, 3214868480
	.type	__hip_cuid_9dd574c3689c47a8,@object ; @__hip_cuid_9dd574c3689c47a8
	.section	.bss,"aw",@nobits
	.globl	__hip_cuid_9dd574c3689c47a8
__hip_cuid_9dd574c3689c47a8:
	.byte	0                               ; 0x0
	.size	__hip_cuid_9dd574c3689c47a8, 1

	.ident	"AMD clang version 19.0.0git (https://github.com/RadeonOpenCompute/llvm-project roc-6.4.0 25133 c7fe45cf4b819c5991fe208aaa96edf142730f1d)"
	.section	".note.GNU-stack","",@progbits
	.addrsig
	.addrsig_sym __hip_cuid_9dd574c3689c47a8
	.amdgpu_metadata
---
amdhsa.kernels:
  - .args:
      - .actual_access:  read_only
        .address_space:  global
        .offset:         0
        .size:           8
        .value_kind:     global_buffer
      - .offset:         8
        .size:           8
        .value_kind:     by_value
      - .actual_access:  read_only
        .address_space:  global
        .offset:         16
        .size:           8
        .value_kind:     global_buffer
      - .actual_access:  read_only
        .address_space:  global
        .offset:         24
        .size:           8
        .value_kind:     global_buffer
      - .actual_access:  read_only
        .address_space:  global
        .offset:         32
        .size:           8
        .value_kind:     global_buffer
      - .offset:         40
        .size:           8
        .value_kind:     by_value
      - .actual_access:  read_only
        .address_space:  global
        .offset:         48
        .size:           8
        .value_kind:     global_buffer
      - .actual_access:  read_only
        .address_space:  global
        .offset:         56
        .size:           8
        .value_kind:     global_buffer
      - .offset:         64
        .size:           4
        .value_kind:     by_value
      - .actual_access:  read_only
        .address_space:  global
        .offset:         72
        .size:           8
        .value_kind:     global_buffer
      - .actual_access:  read_only
        .address_space:  global
        .offset:         80
        .size:           8
        .value_kind:     global_buffer
      - .actual_access:  read_only
        .address_space:  global
        .offset:         88
        .size:           8
        .value_kind:     global_buffer
      - .actual_access:  write_only
        .address_space:  global
        .offset:         96
        .size:           8
        .value_kind:     global_buffer
    .group_segment_fixed_size: 0
    .kernarg_segment_align: 8
    .kernarg_segment_size: 104
    .language:       OpenCL C
    .language_version:
      - 2
      - 0
    .max_flat_workgroup_size: 56
    .name:           fft_rtc_fwd_len1960_factors_4_7_2_7_5_wgs_56_tpt_56_halfLds_sp_op_CI_CI_unitstride_sbrr_dirReg
    .private_segment_fixed_size: 0
    .sgpr_count:     29
    .sgpr_spill_count: 0
    .symbol:         fft_rtc_fwd_len1960_factors_4_7_2_7_5_wgs_56_tpt_56_halfLds_sp_op_CI_CI_unitstride_sbrr_dirReg.kd
    .uniform_work_group_size: 1
    .uses_dynamic_stack: false
    .vgpr_count:     163
    .vgpr_spill_count: 0
    .wavefront_size: 32
    .workgroup_processor_mode: 1
amdhsa.target:   amdgcn-amd-amdhsa--gfx1030
amdhsa.version:
  - 1
  - 2
...

	.end_amdgpu_metadata
